;; amdgpu-corpus repo=ROCm/rocFFT kind=compiled arch=gfx1100 opt=O3
	.text
	.amdgcn_target "amdgcn-amd-amdhsa--gfx1100"
	.amdhsa_code_object_version 6
	.protected	fft_rtc_back_len4000_factors_10_10_10_4_wgs_200_tpt_200_halfLds_sp_ip_CI_unitstride_sbrr_C2R_dirReg ; -- Begin function fft_rtc_back_len4000_factors_10_10_10_4_wgs_200_tpt_200_halfLds_sp_ip_CI_unitstride_sbrr_C2R_dirReg
	.globl	fft_rtc_back_len4000_factors_10_10_10_4_wgs_200_tpt_200_halfLds_sp_ip_CI_unitstride_sbrr_C2R_dirReg
	.p2align	8
	.type	fft_rtc_back_len4000_factors_10_10_10_4_wgs_200_tpt_200_halfLds_sp_ip_CI_unitstride_sbrr_C2R_dirReg,@function
fft_rtc_back_len4000_factors_10_10_10_4_wgs_200_tpt_200_halfLds_sp_ip_CI_unitstride_sbrr_C2R_dirReg: ; @fft_rtc_back_len4000_factors_10_10_10_4_wgs_200_tpt_200_halfLds_sp_ip_CI_unitstride_sbrr_C2R_dirReg
; %bb.0:
	s_clause 0x2
	s_load_b128 s[4:7], s[0:1], 0x0
	s_load_b64 s[8:9], s[0:1], 0x50
	s_load_b64 s[10:11], s[0:1], 0x18
	v_mul_u32_u24_e32 v1, 0x148, v0
	v_mov_b32_e32 v3, 0
	v_mov_b32_e32 v4, 0
	s_delay_alu instid0(VALU_DEP_3) | instskip(SKIP_1) | instid1(VALU_DEP_1)
	v_lshrrev_b32_e32 v2, 16, v1
	v_mov_b32_e32 v1, 0
	v_dual_mov_b32 v6, v1 :: v_dual_add_nc_u32 v5, s15, v2
	s_waitcnt lgkmcnt(0)
	v_cmp_lt_u64_e64 s2, s[6:7], 2
	s_delay_alu instid0(VALU_DEP_1)
	s_and_b32 vcc_lo, exec_lo, s2
	s_cbranch_vccnz .LBB0_8
; %bb.1:
	s_load_b64 s[2:3], s[0:1], 0x10
	v_mov_b32_e32 v3, 0
	s_add_u32 s12, s10, 8
	v_mov_b32_e32 v4, 0
	s_addc_u32 s13, s11, 0
	s_mov_b64 s[16:17], 1
	s_waitcnt lgkmcnt(0)
	s_add_u32 s14, s2, 8
	s_addc_u32 s15, s3, 0
.LBB0_2:                                ; =>This Inner Loop Header: Depth=1
	s_load_b64 s[18:19], s[14:15], 0x0
                                        ; implicit-def: $vgpr7_vgpr8
	s_mov_b32 s2, exec_lo
	s_waitcnt lgkmcnt(0)
	v_or_b32_e32 v2, s19, v6
	s_delay_alu instid0(VALU_DEP_1)
	v_cmpx_ne_u64_e32 0, v[1:2]
	s_xor_b32 s3, exec_lo, s2
	s_cbranch_execz .LBB0_4
; %bb.3:                                ;   in Loop: Header=BB0_2 Depth=1
	v_cvt_f32_u32_e32 v2, s18
	v_cvt_f32_u32_e32 v7, s19
	s_sub_u32 s2, 0, s18
	s_subb_u32 s20, 0, s19
	s_delay_alu instid0(VALU_DEP_1) | instskip(NEXT) | instid1(VALU_DEP_1)
	v_fmac_f32_e32 v2, 0x4f800000, v7
	v_rcp_f32_e32 v2, v2
	s_waitcnt_depctr 0xfff
	v_mul_f32_e32 v2, 0x5f7ffffc, v2
	s_delay_alu instid0(VALU_DEP_1) | instskip(NEXT) | instid1(VALU_DEP_1)
	v_mul_f32_e32 v7, 0x2f800000, v2
	v_trunc_f32_e32 v7, v7
	s_delay_alu instid0(VALU_DEP_1) | instskip(SKIP_1) | instid1(VALU_DEP_2)
	v_fmac_f32_e32 v2, 0xcf800000, v7
	v_cvt_u32_f32_e32 v7, v7
	v_cvt_u32_f32_e32 v2, v2
	s_delay_alu instid0(VALU_DEP_2) | instskip(NEXT) | instid1(VALU_DEP_2)
	v_mul_lo_u32 v8, s2, v7
	v_mul_hi_u32 v9, s2, v2
	v_mul_lo_u32 v10, s20, v2
	s_delay_alu instid0(VALU_DEP_2) | instskip(SKIP_1) | instid1(VALU_DEP_2)
	v_add_nc_u32_e32 v8, v9, v8
	v_mul_lo_u32 v9, s2, v2
	v_add_nc_u32_e32 v8, v8, v10
	s_delay_alu instid0(VALU_DEP_2) | instskip(NEXT) | instid1(VALU_DEP_2)
	v_mul_hi_u32 v10, v2, v9
	v_mul_lo_u32 v11, v2, v8
	v_mul_hi_u32 v12, v2, v8
	v_mul_hi_u32 v13, v7, v9
	v_mul_lo_u32 v9, v7, v9
	v_mul_hi_u32 v14, v7, v8
	v_mul_lo_u32 v8, v7, v8
	v_add_co_u32 v10, vcc_lo, v10, v11
	v_add_co_ci_u32_e32 v11, vcc_lo, 0, v12, vcc_lo
	s_delay_alu instid0(VALU_DEP_2) | instskip(NEXT) | instid1(VALU_DEP_2)
	v_add_co_u32 v9, vcc_lo, v10, v9
	v_add_co_ci_u32_e32 v9, vcc_lo, v11, v13, vcc_lo
	v_add_co_ci_u32_e32 v10, vcc_lo, 0, v14, vcc_lo
	s_delay_alu instid0(VALU_DEP_2) | instskip(NEXT) | instid1(VALU_DEP_2)
	v_add_co_u32 v8, vcc_lo, v9, v8
	v_add_co_ci_u32_e32 v9, vcc_lo, 0, v10, vcc_lo
	s_delay_alu instid0(VALU_DEP_2) | instskip(NEXT) | instid1(VALU_DEP_2)
	v_add_co_u32 v2, vcc_lo, v2, v8
	v_add_co_ci_u32_e32 v7, vcc_lo, v7, v9, vcc_lo
	s_delay_alu instid0(VALU_DEP_2) | instskip(SKIP_1) | instid1(VALU_DEP_3)
	v_mul_hi_u32 v8, s2, v2
	v_mul_lo_u32 v10, s20, v2
	v_mul_lo_u32 v9, s2, v7
	s_delay_alu instid0(VALU_DEP_1) | instskip(SKIP_1) | instid1(VALU_DEP_2)
	v_add_nc_u32_e32 v8, v8, v9
	v_mul_lo_u32 v9, s2, v2
	v_add_nc_u32_e32 v8, v8, v10
	s_delay_alu instid0(VALU_DEP_2) | instskip(NEXT) | instid1(VALU_DEP_2)
	v_mul_hi_u32 v10, v2, v9
	v_mul_lo_u32 v11, v2, v8
	v_mul_hi_u32 v12, v2, v8
	v_mul_hi_u32 v13, v7, v9
	v_mul_lo_u32 v9, v7, v9
	v_mul_hi_u32 v14, v7, v8
	v_mul_lo_u32 v8, v7, v8
	v_add_co_u32 v10, vcc_lo, v10, v11
	v_add_co_ci_u32_e32 v11, vcc_lo, 0, v12, vcc_lo
	s_delay_alu instid0(VALU_DEP_2) | instskip(NEXT) | instid1(VALU_DEP_2)
	v_add_co_u32 v9, vcc_lo, v10, v9
	v_add_co_ci_u32_e32 v9, vcc_lo, v11, v13, vcc_lo
	v_add_co_ci_u32_e32 v10, vcc_lo, 0, v14, vcc_lo
	s_delay_alu instid0(VALU_DEP_2) | instskip(NEXT) | instid1(VALU_DEP_2)
	v_add_co_u32 v8, vcc_lo, v9, v8
	v_add_co_ci_u32_e32 v9, vcc_lo, 0, v10, vcc_lo
	s_delay_alu instid0(VALU_DEP_2) | instskip(NEXT) | instid1(VALU_DEP_2)
	v_add_co_u32 v2, vcc_lo, v2, v8
	v_add_co_ci_u32_e32 v13, vcc_lo, v7, v9, vcc_lo
	s_delay_alu instid0(VALU_DEP_2) | instskip(SKIP_1) | instid1(VALU_DEP_3)
	v_mul_hi_u32 v14, v5, v2
	v_mad_u64_u32 v[9:10], null, v6, v2, 0
	v_mad_u64_u32 v[7:8], null, v5, v13, 0
	;; [unrolled: 1-line block ×3, first 2 shown]
	s_delay_alu instid0(VALU_DEP_2) | instskip(NEXT) | instid1(VALU_DEP_3)
	v_add_co_u32 v2, vcc_lo, v14, v7
	v_add_co_ci_u32_e32 v7, vcc_lo, 0, v8, vcc_lo
	s_delay_alu instid0(VALU_DEP_2) | instskip(NEXT) | instid1(VALU_DEP_2)
	v_add_co_u32 v2, vcc_lo, v2, v9
	v_add_co_ci_u32_e32 v2, vcc_lo, v7, v10, vcc_lo
	v_add_co_ci_u32_e32 v7, vcc_lo, 0, v12, vcc_lo
	s_delay_alu instid0(VALU_DEP_2) | instskip(NEXT) | instid1(VALU_DEP_2)
	v_add_co_u32 v2, vcc_lo, v2, v11
	v_add_co_ci_u32_e32 v9, vcc_lo, 0, v7, vcc_lo
	s_delay_alu instid0(VALU_DEP_2) | instskip(SKIP_1) | instid1(VALU_DEP_3)
	v_mul_lo_u32 v10, s19, v2
	v_mad_u64_u32 v[7:8], null, s18, v2, 0
	v_mul_lo_u32 v11, s18, v9
	s_delay_alu instid0(VALU_DEP_2) | instskip(NEXT) | instid1(VALU_DEP_2)
	v_sub_co_u32 v7, vcc_lo, v5, v7
	v_add3_u32 v8, v8, v11, v10
	s_delay_alu instid0(VALU_DEP_1) | instskip(NEXT) | instid1(VALU_DEP_1)
	v_sub_nc_u32_e32 v10, v6, v8
	v_subrev_co_ci_u32_e64 v10, s2, s19, v10, vcc_lo
	v_add_co_u32 v11, s2, v2, 2
	s_delay_alu instid0(VALU_DEP_1) | instskip(SKIP_3) | instid1(VALU_DEP_3)
	v_add_co_ci_u32_e64 v12, s2, 0, v9, s2
	v_sub_co_u32 v13, s2, v7, s18
	v_sub_co_ci_u32_e32 v8, vcc_lo, v6, v8, vcc_lo
	v_subrev_co_ci_u32_e64 v10, s2, 0, v10, s2
	v_cmp_le_u32_e32 vcc_lo, s18, v13
	s_delay_alu instid0(VALU_DEP_3) | instskip(SKIP_1) | instid1(VALU_DEP_4)
	v_cmp_eq_u32_e64 s2, s19, v8
	v_cndmask_b32_e64 v13, 0, -1, vcc_lo
	v_cmp_le_u32_e32 vcc_lo, s19, v10
	v_cndmask_b32_e64 v14, 0, -1, vcc_lo
	v_cmp_le_u32_e32 vcc_lo, s18, v7
	;; [unrolled: 2-line block ×3, first 2 shown]
	v_cndmask_b32_e64 v15, 0, -1, vcc_lo
	v_cmp_eq_u32_e32 vcc_lo, s19, v10
	s_delay_alu instid0(VALU_DEP_2) | instskip(SKIP_3) | instid1(VALU_DEP_3)
	v_cndmask_b32_e64 v7, v15, v7, s2
	v_cndmask_b32_e32 v10, v14, v13, vcc_lo
	v_add_co_u32 v13, vcc_lo, v2, 1
	v_add_co_ci_u32_e32 v14, vcc_lo, 0, v9, vcc_lo
	v_cmp_ne_u32_e32 vcc_lo, 0, v10
	s_delay_alu instid0(VALU_DEP_2) | instskip(NEXT) | instid1(VALU_DEP_4)
	v_cndmask_b32_e32 v8, v14, v12, vcc_lo
	v_cndmask_b32_e32 v10, v13, v11, vcc_lo
	v_cmp_ne_u32_e32 vcc_lo, 0, v7
	s_delay_alu instid0(VALU_DEP_2)
	v_dual_cndmask_b32 v7, v2, v10 :: v_dual_cndmask_b32 v8, v9, v8
.LBB0_4:                                ;   in Loop: Header=BB0_2 Depth=1
	s_and_not1_saveexec_b32 s2, s3
	s_cbranch_execz .LBB0_6
; %bb.5:                                ;   in Loop: Header=BB0_2 Depth=1
	v_cvt_f32_u32_e32 v2, s18
	s_sub_i32 s3, 0, s18
	s_delay_alu instid0(VALU_DEP_1) | instskip(SKIP_2) | instid1(VALU_DEP_1)
	v_rcp_iflag_f32_e32 v2, v2
	s_waitcnt_depctr 0xfff
	v_mul_f32_e32 v2, 0x4f7ffffe, v2
	v_cvt_u32_f32_e32 v2, v2
	s_delay_alu instid0(VALU_DEP_1) | instskip(NEXT) | instid1(VALU_DEP_1)
	v_mul_lo_u32 v7, s3, v2
	v_mul_hi_u32 v7, v2, v7
	s_delay_alu instid0(VALU_DEP_1) | instskip(NEXT) | instid1(VALU_DEP_1)
	v_add_nc_u32_e32 v2, v2, v7
	v_mul_hi_u32 v2, v5, v2
	s_delay_alu instid0(VALU_DEP_1) | instskip(SKIP_1) | instid1(VALU_DEP_2)
	v_mul_lo_u32 v7, v2, s18
	v_add_nc_u32_e32 v8, 1, v2
	v_sub_nc_u32_e32 v7, v5, v7
	s_delay_alu instid0(VALU_DEP_1) | instskip(SKIP_1) | instid1(VALU_DEP_2)
	v_subrev_nc_u32_e32 v9, s18, v7
	v_cmp_le_u32_e32 vcc_lo, s18, v7
	v_dual_cndmask_b32 v7, v7, v9 :: v_dual_cndmask_b32 v2, v2, v8
	s_delay_alu instid0(VALU_DEP_1) | instskip(NEXT) | instid1(VALU_DEP_2)
	v_cmp_le_u32_e32 vcc_lo, s18, v7
	v_add_nc_u32_e32 v8, 1, v2
	s_delay_alu instid0(VALU_DEP_1)
	v_dual_cndmask_b32 v7, v2, v8 :: v_dual_mov_b32 v8, v1
.LBB0_6:                                ;   in Loop: Header=BB0_2 Depth=1
	s_or_b32 exec_lo, exec_lo, s2
	s_load_b64 s[2:3], s[12:13], 0x0
	s_delay_alu instid0(VALU_DEP_1) | instskip(NEXT) | instid1(VALU_DEP_2)
	v_mul_lo_u32 v2, v8, s18
	v_mul_lo_u32 v11, v7, s19
	v_mad_u64_u32 v[9:10], null, v7, s18, 0
	s_add_u32 s16, s16, 1
	s_addc_u32 s17, s17, 0
	s_add_u32 s12, s12, 8
	s_addc_u32 s13, s13, 0
	;; [unrolled: 2-line block ×3, first 2 shown]
	s_delay_alu instid0(VALU_DEP_1) | instskip(SKIP_1) | instid1(VALU_DEP_2)
	v_add3_u32 v2, v10, v11, v2
	v_sub_co_u32 v9, vcc_lo, v5, v9
	v_sub_co_ci_u32_e32 v2, vcc_lo, v6, v2, vcc_lo
	s_waitcnt lgkmcnt(0)
	s_delay_alu instid0(VALU_DEP_2) | instskip(NEXT) | instid1(VALU_DEP_2)
	v_mul_lo_u32 v10, s3, v9
	v_mul_lo_u32 v2, s2, v2
	v_mad_u64_u32 v[5:6], null, s2, v9, v[3:4]
	v_cmp_ge_u64_e64 s2, s[16:17], s[6:7]
	s_delay_alu instid0(VALU_DEP_1) | instskip(NEXT) | instid1(VALU_DEP_2)
	s_and_b32 vcc_lo, exec_lo, s2
	v_add3_u32 v4, v10, v6, v2
	s_delay_alu instid0(VALU_DEP_3)
	v_mov_b32_e32 v3, v5
	s_cbranch_vccnz .LBB0_9
; %bb.7:                                ;   in Loop: Header=BB0_2 Depth=1
	v_dual_mov_b32 v5, v7 :: v_dual_mov_b32 v6, v8
	s_branch .LBB0_2
.LBB0_8:
	v_dual_mov_b32 v8, v6 :: v_dual_mov_b32 v7, v5
.LBB0_9:
	s_lshl_b64 s[2:3], s[6:7], 3
	s_delay_alu instid0(SALU_CYCLE_1)
	s_add_u32 s2, s10, s2
	s_addc_u32 s3, s11, s3
	s_load_b64 s[2:3], s[2:3], 0x0
	s_load_b64 s[0:1], s[0:1], 0x20
	s_waitcnt lgkmcnt(0)
	v_mul_lo_u32 v5, s2, v8
	v_mul_lo_u32 v6, s3, v7
	v_mad_u64_u32 v[1:2], null, s2, v7, v[3:4]
	v_mul_hi_u32 v3, 0x147ae15, v0
	v_cmp_gt_u64_e32 vcc_lo, s[0:1], v[7:8]
	s_delay_alu instid0(VALU_DEP_3) | instskip(NEXT) | instid1(VALU_DEP_3)
	v_add3_u32 v2, v6, v2, v5
	v_mul_u32_u24_e32 v3, 0xc8, v3
	s_delay_alu instid0(VALU_DEP_2) | instskip(NEXT) | instid1(VALU_DEP_2)
	v_lshlrev_b64 v[34:35], 3, v[1:2]
	v_sub_nc_u32_e32 v32, v0, v3
	s_and_saveexec_b32 s1, vcc_lo
	s_cbranch_execz .LBB0_13
; %bb.10:
	s_delay_alu instid0(VALU_DEP_1) | instskip(SKIP_2) | instid1(VALU_DEP_1)
	v_lshl_add_u32 v46, v32, 3, 0
	v_mov_b32_e32 v33, 0
	v_add_co_u32 v0, s0, s8, v34
	v_add_co_ci_u32_e64 v1, s0, s9, v35, s0
	s_delay_alu instid0(VALU_DEP_4) | instskip(NEXT) | instid1(VALU_DEP_4)
	v_add_nc_u32_e32 v48, 0x1800, v46
	v_lshlrev_b64 v[2:3], 3, v[32:33]
	v_add_nc_u32_e32 v47, 0xc00, v46
	v_add_nc_u32_e32 v49, 0x2400, v46
	s_mov_b32 s2, exec_lo
	v_add_nc_u32_e32 v50, 0x3200, v46
	v_add_nc_u32_e32 v51, 0x3e00, v46
	v_add_co_u32 v2, s0, v0, v2
	s_delay_alu instid0(VALU_DEP_1) | instskip(SKIP_1) | instid1(VALU_DEP_3)
	v_add_co_ci_u32_e64 v3, s0, v1, v3, s0
	v_add_nc_u32_e32 v52, 0x4a00, v46
	v_add_co_u32 v4, s0, 0x1000, v2
	s_delay_alu instid0(VALU_DEP_1) | instskip(SKIP_1) | instid1(VALU_DEP_1)
	v_add_co_ci_u32_e64 v5, s0, 0, v3, s0
	v_add_co_u32 v6, s0, 0x2000, v2
	v_add_co_ci_u32_e64 v7, s0, 0, v3, s0
	v_add_co_u32 v16, s0, 0x3000, v2
	s_delay_alu instid0(VALU_DEP_1) | instskip(SKIP_1) | instid1(VALU_DEP_1)
	v_add_co_ci_u32_e64 v17, s0, 0, v3, s0
	v_add_co_u32 v18, s0, 0x4000, v2
	v_add_co_ci_u32_e64 v19, s0, 0, v3, s0
	v_add_co_u32 v30, s0, 0x5000, v2
	s_delay_alu instid0(VALU_DEP_1) | instskip(SKIP_1) | instid1(VALU_DEP_1)
	v_add_co_ci_u32_e64 v31, s0, 0, v3, s0
	v_add_co_u32 v36, s0, 0x6000, v2
	v_add_co_ci_u32_e64 v37, s0, 0, v3, s0
	s_clause 0x3
	global_load_b64 v[8:9], v[2:3], off
	global_load_b64 v[10:11], v[2:3], off offset:1600
	global_load_b64 v[12:13], v[2:3], off offset:3200
	;; [unrolled: 1-line block ×3, first 2 shown]
	v_add_co_u32 v2, s0, 0x7000, v2
	s_delay_alu instid0(VALU_DEP_1)
	v_add_co_ci_u32_e64 v3, s0, 0, v3, s0
	s_clause 0xf
	global_load_b64 v[20:21], v[4:5], off offset:2304
	global_load_b64 v[4:5], v[4:5], off offset:3904
	;; [unrolled: 1-line block ×16, first 2 shown]
	v_add_nc_u32_e32 v53, 0x5600, v46
	v_add_nc_u32_e32 v54, 0x6400, v46
	;; [unrolled: 1-line block ×3, first 2 shown]
	s_waitcnt vmcnt(18)
	ds_store_2addr_b64 v46, v[8:9], v[10:11] offset1:200
	s_waitcnt vmcnt(16)
	ds_store_2addr_b64 v47, v[12:13], v[14:15] offset0:16 offset1:216
	s_waitcnt vmcnt(14)
	ds_store_2addr_b64 v48, v[20:21], v[4:5] offset0:32 offset1:232
	;; [unrolled: 2-line block ×3, first 2 shown]
	s_waitcnt vmcnt(10)
	ds_store_2addr_b64 v50, v[24:25], v[26:27] offset1:200
	s_waitcnt vmcnt(8)
	ds_store_2addr_b64 v51, v[16:17], v[28:29] offset0:16 offset1:216
	s_waitcnt vmcnt(6)
	ds_store_2addr_b64 v52, v[18:19], v[38:39] offset0:32 offset1:232
	s_waitcnt vmcnt(4)
	ds_store_2addr_b64 v53, v[40:41], v[30:31] offset0:48 offset1:248
	s_waitcnt vmcnt(2)
	ds_store_2addr_b64 v54, v[42:43], v[36:37] offset1:200
	s_waitcnt vmcnt(0)
	ds_store_2addr_b64 v55, v[44:45], v[2:3] offset0:16 offset1:216
	v_cmpx_eq_u32_e32 0xc7, v32
	s_cbranch_execz .LBB0_12
; %bb.11:
	v_add_co_u32 v0, s0, 0x7000, v0
	s_delay_alu instid0(VALU_DEP_1)
	v_add_co_ci_u32_e64 v1, s0, 0, v1, s0
	v_mov_b32_e32 v32, 0xc7
	global_load_b64 v[0:1], v[0:1], off offset:3328
	s_waitcnt vmcnt(0)
	ds_store_b64 v33, v[0:1] offset:32000
.LBB0_12:
	s_or_b32 exec_lo, exec_lo, s2
.LBB0_13:
	s_delay_alu instid0(SALU_CYCLE_1) | instskip(NEXT) | instid1(VALU_DEP_1)
	s_or_b32 exec_lo, exec_lo, s1
	v_lshlrev_b32_e32 v0, 3, v32
	s_waitcnt lgkmcnt(0)
	s_barrier
	buffer_gl0_inv
	s_add_u32 s1, s4, 0x7cb0
	v_add_nc_u32_e32 v46, 0, v0
	v_sub_nc_u32_e32 v6, 0, v0
	s_addc_u32 s2, s5, 0
	s_mov_b32 s3, exec_lo
                                        ; implicit-def: $vgpr2_vgpr3
	ds_load_b32 v4, v46
	ds_load_b32 v5, v6 offset:32000
	s_waitcnt lgkmcnt(0)
	v_dual_sub_f32 v1, v4, v5 :: v_dual_add_f32 v0, v5, v4
	v_cmpx_ne_u32_e32 0, v32
	s_xor_b32 s3, exec_lo, s3
	s_cbranch_execz .LBB0_15
; %bb.14:
	v_dual_mov_b32 v33, 0 :: v_dual_sub_f32 v8, v4, v5
	s_delay_alu instid0(VALU_DEP_1) | instskip(NEXT) | instid1(VALU_DEP_1)
	v_lshlrev_b64 v[0:1], 3, v[32:33]
	v_add_co_u32 v0, s0, s1, v0
	s_delay_alu instid0(VALU_DEP_1)
	v_add_co_ci_u32_e64 v1, s0, s2, v1, s0
	global_load_b64 v[2:3], v[0:1], off
	ds_load_b32 v0, v6 offset:32004
	ds_load_b32 v1, v46 offset:4
	s_waitcnt lgkmcnt(0)
	v_dual_add_f32 v9, v0, v1 :: v_dual_sub_f32 v0, v1, v0
	v_add_f32_e32 v7, v5, v4
	s_waitcnt vmcnt(0)
	s_delay_alu instid0(VALU_DEP_1) | instskip(NEXT) | instid1(VALU_DEP_3)
	v_fma_f32 v4, -v8, v3, v7
	v_fma_f32 v5, v9, v3, -v0
	v_fma_f32 v1, v9, v3, v0
	s_delay_alu instid0(VALU_DEP_3) | instskip(SKIP_1) | instid1(VALU_DEP_4)
	v_fmac_f32_e32 v4, v2, v9
	v_fma_f32 v10, v8, v3, v7
	v_fmac_f32_e32 v5, v8, v2
	s_delay_alu instid0(VALU_DEP_4) | instskip(NEXT) | instid1(VALU_DEP_3)
	v_fmac_f32_e32 v1, v8, v2
	v_fma_f32 v0, -v2, v9, v10
	v_dual_mov_b32 v2, v32 :: v_dual_mov_b32 v3, v33
	ds_store_b64 v6, v[4:5] offset:32000
.LBB0_15:
	s_and_not1_saveexec_b32 s0, s3
	s_cbranch_execz .LBB0_17
; %bb.16:
	v_mov_b32_e32 v7, 0
	ds_load_b64 v[2:3], v7 offset:16000
	s_waitcnt lgkmcnt(0)
	v_dual_add_f32 v4, v2, v2 :: v_dual_mul_f32 v5, -2.0, v3
	v_mov_b32_e32 v2, 0
	v_mov_b32_e32 v3, 0
	ds_store_b64 v7, v[4:5] offset:16000
.LBB0_17:
	s_or_b32 exec_lo, exec_lo, s0
	v_lshlrev_b64 v[2:3], 3, v[2:3]
	v_mad_u32_u24 v42, 0x48, v32, v46
	v_add_nc_u32_e32 v49, 0x4a00, v46
	v_add_nc_u32_e32 v56, 0xc8, v32
	;; [unrolled: 1-line block ×4, first 2 shown]
	v_add_co_u32 v2, s0, s1, v2
	s_delay_alu instid0(VALU_DEP_1) | instskip(SKIP_4) | instid1(VALU_DEP_1)
	v_add_co_ci_u32_e64 v3, s0, s2, v3, s0
	s_clause 0x1
	global_load_b64 v[4:5], v[2:3], off offset:1600
	global_load_b64 v[7:8], v[2:3], off offset:3200
	v_add_co_u32 v9, s0, 0x1000, v2
	v_add_co_ci_u32_e64 v10, s0, 0, v3, s0
	s_clause 0x2
	global_load_b64 v[11:12], v[9:10], off offset:704
	global_load_b64 v[13:14], v[9:10], off offset:2304
	;; [unrolled: 1-line block ×3, first 2 shown]
	v_add_co_u32 v15, s0, 0x2000, v2
	s_delay_alu instid0(VALU_DEP_1) | instskip(SKIP_4) | instid1(VALU_DEP_1)
	v_add_co_ci_u32_e64 v16, s0, 0, v3, s0
	s_clause 0x1
	global_load_b64 v[17:18], v[15:16], off offset:1408
	global_load_b64 v[15:16], v[15:16], off offset:3008
	v_add_co_u32 v2, s0, 0x3000, v2
	v_add_co_ci_u32_e64 v3, s0, 0, v3, s0
	ds_store_b64 v46, v[0:1]
	ds_load_b64 v[0:1], v46 offset:1600
	ds_load_b64 v[19:20], v6 offset:30400
	v_cmp_gt_u32_e64 s0, 0x64, v32
	global_load_b64 v[21:22], v[2:3], off offset:512
	v_add_nc_u32_e32 v52, 0x3e00, v46
	v_add_nc_u32_e32 v50, 0x5600, v46
	;; [unrolled: 1-line block ×3, first 2 shown]
	s_waitcnt lgkmcnt(0)
	v_dual_add_f32 v23, v0, v19 :: v_dual_add_nc_u32 v64, 0x3eb0, v42
	v_sub_f32_e32 v25, v0, v19
	v_add_f32_e32 v24, v20, v1
	v_sub_f32_e32 v0, v1, v20
	s_waitcnt vmcnt(7)
	s_delay_alu instid0(VALU_DEP_1) | instskip(SKIP_2) | instid1(VALU_DEP_3)
	v_fma_f32 v1, v24, v5, v0
	v_fma_f32 v26, v25, v5, v23
	v_fma_f32 v19, -v25, v5, v23
	v_fmac_f32_e32 v1, v25, v4
	v_fma_f32 v20, v24, v5, -v0
	s_delay_alu instid0(VALU_DEP_4) | instskip(NEXT) | instid1(VALU_DEP_4)
	v_fma_f32 v0, -v4, v24, v26
	v_fmac_f32_e32 v19, v4, v24
	s_delay_alu instid0(VALU_DEP_3)
	v_fmac_f32_e32 v20, v25, v4
	ds_store_b64 v46, v[0:1] offset:1600
	ds_store_b64 v6, v[19:20] offset:30400
	ds_load_b64 v[4:5], v46 offset:3200
	ds_load_b64 v[19:20], v6 offset:28800
	global_load_b64 v[0:1], v[2:3], off offset:2112
	s_waitcnt lgkmcnt(0)
	v_add_f32_e32 v2, v4, v19
	v_add_f32_e32 v23, v20, v5
	v_sub_f32_e32 v19, v4, v19
	v_sub_f32_e32 v5, v5, v20
	s_waitcnt vmcnt(7)
	s_delay_alu instid0(VALU_DEP_2) | instskip(NEXT) | instid1(VALU_DEP_2)
	v_fma_f32 v20, v19, v8, v2
	v_fma_f32 v3, v23, v8, v5
	v_fma_f32 v4, -v19, v8, v2
	v_fma_f32 v5, v23, v8, -v5
	s_delay_alu instid0(VALU_DEP_4) | instskip(NEXT) | instid1(VALU_DEP_4)
	v_fma_f32 v2, -v7, v23, v20
	v_fmac_f32_e32 v3, v19, v7
	s_delay_alu instid0(VALU_DEP_4) | instskip(NEXT) | instid1(VALU_DEP_4)
	v_fmac_f32_e32 v4, v7, v23
	v_fmac_f32_e32 v5, v19, v7
	ds_store_b64 v46, v[2:3] offset:3200
	ds_store_b64 v6, v[4:5] offset:28800
	ds_load_b64 v[2:3], v46 offset:4800
	ds_load_b64 v[4:5], v6 offset:27200
	s_waitcnt lgkmcnt(0)
	v_dual_add_f32 v7, v2, v4 :: v_dual_add_f32 v8, v5, v3
	v_dual_sub_f32 v19, v2, v4 :: v_dual_sub_f32 v2, v3, v5
	s_waitcnt vmcnt(6)
	s_delay_alu instid0(VALU_DEP_1) | instskip(NEXT) | instid1(VALU_DEP_2)
	v_fma_f32 v20, v19, v12, v7
	v_fma_f32 v3, v8, v12, v2
	v_fma_f32 v4, -v19, v12, v7
	v_fma_f32 v5, v8, v12, -v2
	s_delay_alu instid0(VALU_DEP_4) | instskip(NEXT) | instid1(VALU_DEP_4)
	v_fma_f32 v2, -v11, v8, v20
	v_fmac_f32_e32 v3, v19, v11
	s_delay_alu instid0(VALU_DEP_4) | instskip(NEXT) | instid1(VALU_DEP_4)
	v_fmac_f32_e32 v4, v11, v8
	v_fmac_f32_e32 v5, v19, v11
	ds_store_b64 v46, v[2:3] offset:4800
	ds_store_b64 v6, v[4:5] offset:27200
	ds_load_b64 v[2:3], v46 offset:6400
	ds_load_b64 v[4:5], v6 offset:25600
	s_waitcnt lgkmcnt(0)
	v_dual_add_f32 v7, v2, v4 :: v_dual_add_f32 v8, v5, v3
	v_dual_sub_f32 v11, v2, v4 :: v_dual_sub_f32 v2, v3, v5
	s_waitcnt vmcnt(5)
	s_delay_alu instid0(VALU_DEP_1) | instskip(NEXT) | instid1(VALU_DEP_2)
	v_fma_f32 v12, v11, v14, v7
	v_fma_f32 v3, v8, v14, v2
	v_fma_f32 v4, -v11, v14, v7
	v_fma_f32 v5, v8, v14, -v2
	s_delay_alu instid0(VALU_DEP_4) | instskip(NEXT) | instid1(VALU_DEP_3)
	v_fma_f32 v2, -v13, v8, v12
	v_dual_fmac_f32 v3, v11, v13 :: v_dual_fmac_f32 v4, v13, v8
	s_delay_alu instid0(VALU_DEP_3)
	v_fmac_f32_e32 v5, v11, v13
	ds_store_b64 v46, v[2:3] offset:6400
	ds_store_b64 v6, v[4:5] offset:25600
	ds_load_b64 v[2:3], v46 offset:8000
	ds_load_b64 v[4:5], v6 offset:24000
	s_waitcnt lgkmcnt(0)
	v_dual_add_f32 v7, v2, v4 :: v_dual_add_f32 v8, v5, v3
	v_dual_sub_f32 v11, v2, v4 :: v_dual_sub_f32 v2, v3, v5
	s_waitcnt vmcnt(4)
	s_delay_alu instid0(VALU_DEP_1) | instskip(NEXT) | instid1(VALU_DEP_2)
	v_fma_f32 v12, v11, v10, v7
	v_fma_f32 v3, v8, v10, v2
	v_fma_f32 v4, -v11, v10, v7
	v_fma_f32 v5, v8, v10, -v2
	s_delay_alu instid0(VALU_DEP_4) | instskip(NEXT) | instid1(VALU_DEP_3)
	v_fma_f32 v2, -v9, v8, v12
	v_dual_fmac_f32 v3, v11, v9 :: v_dual_fmac_f32 v4, v9, v8
	s_delay_alu instid0(VALU_DEP_3)
	v_fmac_f32_e32 v5, v11, v9
	ds_store_b64 v46, v[2:3] offset:8000
	ds_store_b64 v6, v[4:5] offset:24000
	ds_load_b64 v[2:3], v46 offset:9600
	ds_load_b64 v[4:5], v6 offset:22400
	s_waitcnt lgkmcnt(0)
	v_dual_add_f32 v7, v2, v4 :: v_dual_add_f32 v8, v5, v3
	v_dual_sub_f32 v9, v2, v4 :: v_dual_sub_f32 v2, v3, v5
	s_waitcnt vmcnt(3)
	s_delay_alu instid0(VALU_DEP_1) | instskip(NEXT) | instid1(VALU_DEP_2)
	v_fma_f32 v10, v9, v18, v7
	v_fma_f32 v3, v8, v18, v2
	v_fma_f32 v4, -v9, v18, v7
	v_fma_f32 v5, v8, v18, -v2
	s_delay_alu instid0(VALU_DEP_4) | instskip(NEXT) | instid1(VALU_DEP_4)
	v_fma_f32 v2, -v17, v8, v10
	v_fmac_f32_e32 v3, v9, v17
	s_delay_alu instid0(VALU_DEP_4) | instskip(NEXT) | instid1(VALU_DEP_4)
	v_fmac_f32_e32 v4, v17, v8
	v_fmac_f32_e32 v5, v9, v17
	ds_store_b64 v46, v[2:3] offset:9600
	ds_store_b64 v6, v[4:5] offset:22400
	ds_load_b64 v[2:3], v46 offset:11200
	ds_load_b64 v[4:5], v6 offset:20800
	s_waitcnt lgkmcnt(0)
	v_dual_add_f32 v7, v2, v4 :: v_dual_add_f32 v8, v5, v3
	v_dual_sub_f32 v9, v2, v4 :: v_dual_sub_f32 v2, v3, v5
	s_waitcnt vmcnt(2)
	s_delay_alu instid0(VALU_DEP_1) | instskip(NEXT) | instid1(VALU_DEP_2)
	v_fma_f32 v10, v9, v16, v7
	v_fma_f32 v3, v8, v16, v2
	v_fma_f32 v4, -v9, v16, v7
	v_fma_f32 v5, v8, v16, -v2
	s_delay_alu instid0(VALU_DEP_4) | instskip(NEXT) | instid1(VALU_DEP_3)
	v_fma_f32 v2, -v15, v8, v10
	v_dual_fmac_f32 v3, v9, v15 :: v_dual_fmac_f32 v4, v15, v8
	s_delay_alu instid0(VALU_DEP_3)
	v_fmac_f32_e32 v5, v9, v15
	ds_store_b64 v46, v[2:3] offset:11200
	ds_store_b64 v6, v[4:5] offset:20800
	ds_load_b64 v[2:3], v46 offset:12800
	ds_load_b64 v[4:5], v6 offset:19200
	s_waitcnt lgkmcnt(0)
	v_add_f32_e32 v7, v2, v4
	v_dual_sub_f32 v9, v2, v4 :: v_dual_add_f32 v8, v5, v3
	v_sub_f32_e32 v2, v3, v5
	s_waitcnt vmcnt(1)
	s_delay_alu instid0(VALU_DEP_2)
	v_fma_f32 v10, v9, v22, v7
	v_fma_f32 v4, -v9, v22, v7
	v_and_b32_e32 v7, 0xff, v32
	v_fma_f32 v3, v8, v22, v2
	v_fma_f32 v5, v8, v22, -v2
	v_fma_f32 v2, -v21, v8, v10
	v_fmac_f32_e32 v4, v21, v8
	v_mul_lo_u16 v7, 0xcd, v7
	v_and_b32_e32 v8, 0xffff, v56
	s_delay_alu instid0(VALU_DEP_2) | instskip(NEXT) | instid1(VALU_DEP_2)
	v_lshrrev_b16 v57, 11, v7
	v_mul_u32_u24_e32 v8, 0xcccd, v8
	s_delay_alu instid0(VALU_DEP_2) | instskip(NEXT) | instid1(VALU_DEP_2)
	v_mul_lo_u16 v7, v57, 10
	v_lshrrev_b32_e32 v43, 19, v8
	s_delay_alu instid0(VALU_DEP_2) | instskip(NEXT) | instid1(VALU_DEP_1)
	v_sub_nc_u16 v7, v32, v7
	v_dual_fmac_f32 v3, v9, v21 :: v_dual_and_b32 v44, 0xff, v7
	v_fmac_f32_e32 v5, v9, v21
	ds_store_b64 v46, v[2:3] offset:12800
	ds_store_b64 v6, v[4:5] offset:19200
	ds_load_b64 v[2:3], v46 offset:14400
	ds_load_b64 v[4:5], v6 offset:17600
	v_mul_u32_u24_e32 v20, 9, v44
	s_waitcnt lgkmcnt(0)
	v_sub_f32_e32 v10, v2, v4
	v_dual_add_f32 v8, v2, v4 :: v_dual_add_f32 v9, v5, v3
	v_sub_f32_e32 v4, v3, v5
	v_mul_lo_u16 v5, v43, 10
	s_waitcnt vmcnt(0)
	s_delay_alu instid0(VALU_DEP_3)
	v_fma_f32 v11, v10, v1, v8
	v_fma_f32 v3, -v10, v1, v8
	v_fma_f32 v2, v9, v1, v4
	v_fma_f32 v4, v9, v1, -v4
	v_add_nc_u32_e32 v33, 0x1800, v46
	v_sub_nc_u16 v5, v56, v5
	v_fma_f32 v1, -v0, v9, v11
	v_dual_fmac_f32 v2, v10, v0 :: v_dual_add_nc_u32 v47, 0x3200, v46
	v_dual_fmac_f32 v4, v10, v0 :: v_dual_fmac_f32 v3, v0, v9
	s_delay_alu instid0(VALU_DEP_4)
	v_and_b32_e32 v45, 0xffff, v5
	ds_store_b64 v46, v[1:2] offset:14400
	ds_store_b64 v6, v[3:4] offset:17600
	s_waitcnt lgkmcnt(0)
	s_barrier
	buffer_gl0_inv
	s_barrier
	buffer_gl0_inv
	ds_load_2addr_b64 v[0:3], v46 offset1:200
	ds_load_2addr_b64 v[4:7], v33 offset0:32 offset1:232
	ds_load_2addr_b64 v[8:11], v47 offset1:200
	ds_load_2addr_b64 v[12:15], v49 offset0:32 offset1:232
	ds_load_2addr_b64 v[16:19], v54 offset1:200
	v_add_nc_u32_e32 v51, 0x2400, v46
	v_add_nc_u32_e32 v53, 0x7000, v46
	v_lshlrev_b32_e32 v66, 3, v20
	v_add_nc_u32_e32 v55, 0x3e80, v42
	v_add_nc_u32_e32 v65, 0x3ec0, v42
	s_waitcnt lgkmcnt(3)
	v_dual_add_f32 v40, v0, v4 :: v_dual_add_nc_u32 v63, 0x3ea0, v42
	s_waitcnt lgkmcnt(2)
	v_sub_f32_e32 v70, v4, v8
	v_add_f32_e32 v92, v2, v6
	s_waitcnt lgkmcnt(0)
	v_sub_f32_e32 v74, v12, v16
	v_mul_u32_u24_e32 v21, 9, v45
	v_dual_add_f32 v72, v4, v16 :: v_dual_sub_f32 v79, v17, v13
	v_dual_add_f32 v41, v8, v12 :: v_dual_add_f32 v80, v5, v17
	s_delay_alu instid0(VALU_DEP_3)
	v_lshlrev_b32_e32 v67, 3, v21
	ds_load_2addr_b64 v[20:23], v48 offset0:16 offset1:216
	ds_load_2addr_b64 v[24:27], v51 offset0:48 offset1:248
	;; [unrolled: 1-line block ×5, first 2 shown]
	v_sub_f32_e32 v71, v16, v12
	v_add_f32_e32 v75, v1, v5
	v_sub_f32_e32 v95, v11, v15
	v_add_f32_e32 v98, v3, v7
	v_sub_f32_e32 v68, v5, v17
	v_sub_f32_e32 v69, v9, v13
	v_dual_sub_f32 v73, v8, v4 :: v_dual_add_f32 v76, v9, v13
	v_dual_sub_f32 v77, v8, v12 :: v_dual_sub_f32 v78, v5, v9
	v_dual_sub_f32 v5, v9, v5 :: v_dual_sub_f32 v94, v7, v19
	;; [unrolled: 1-line block ×3, first 2 shown]
	v_dual_add_f32 v93, v10, v14 :: v_dual_sub_f32 v106, v19, v15
	s_waitcnt lgkmcnt(3)
	v_dual_add_f32 v82, v20, v24 :: v_dual_add_f32 v87, v21, v25
	s_waitcnt lgkmcnt(1)
	v_dual_sub_f32 v102, v11, v7 :: v_dual_add_f32 v83, v28, v36
	v_dual_add_f32 v108, v22, v26 :: v_dual_add_f32 v113, v23, v27
	v_dual_sub_f32 v84, v29, v37 :: v_dual_sub_f32 v85, v24, v28
	v_sub_f32_e32 v100, v10, v14
	v_sub_f32_e32 v86, v28, v24
	v_dual_add_f32 v88, v29, v37 :: v_dual_sub_f32 v89, v28, v36
	v_add_f32_e32 v104, v6, v18
	v_sub_f32_e32 v90, v25, v29
	v_sub_f32_e32 v91, v29, v25
	v_dual_sub_f32 v97, v10, v6 :: v_dual_sub_f32 v110, v31, v39
	v_dual_add_f32 v99, v11, v15 :: v_dual_sub_f32 v112, v30, v26
	v_dual_sub_f32 v101, v7, v11 :: v_dual_add_f32 v8, v40, v8
	v_dual_sub_f32 v103, v18, v14 :: v_dual_add_f32 v114, v31, v39
	v_dual_add_f32 v7, v7, v19 :: v_dual_add_f32 v10, v92, v10
	v_dual_sub_f32 v105, v14, v18 :: v_dual_sub_f32 v116, v27, v31
	s_waitcnt lgkmcnt(0)
	v_dual_sub_f32 v107, v15, v19 :: v_dual_add_f32 v92, v24, v58
	v_dual_add_f32 v109, v30, v38 :: v_dual_sub_f32 v40, v31, v27
	v_sub_f32_e32 v111, v26, v30
	v_sub_f32_e32 v115, v30, v38
	v_dual_add_f32 v9, v75, v9 :: v_dual_add_f32 v28, v82, v28
	v_dual_add_f32 v11, v98, v11 :: v_dual_add_f32 v30, v108, v30
	v_dual_sub_f32 v24, v24, v58 :: v_dual_add_f32 v29, v87, v29
	v_dual_sub_f32 v98, v58, v36 :: v_dual_add_f32 v31, v113, v31
	v_sub_f32_e32 v108, v36, v58
	v_sub_f32_e32 v82, v27, v61
	v_dual_add_f32 v27, v27, v61 :: v_dual_add_f32 v70, v70, v71
	s_delay_alu instid0(VALU_DEP_3)
	v_dual_sub_f32 v71, v37, v59 :: v_dual_add_f32 v86, v86, v108
	v_dual_sub_f32 v6, v6, v18 :: v_dual_sub_f32 v75, v25, v59
	v_add_f32_e32 v25, v25, v59
	v_add_f32_e32 v87, v26, v60
	v_dual_add_f32 v85, v85, v98 :: v_dual_sub_f32 v98, v39, v61
	v_add_f32_e32 v5, v5, v81
	v_sub_f32_e32 v81, v61, v39
	v_add_f32_e32 v71, v91, v71
	v_dual_add_f32 v91, v96, v103 :: v_dual_add_f32 v96, v97, v105
	v_add_f32_e32 v97, v101, v106
	v_fma_f32 v101, -0.5, v114, v23
	v_fmac_f32_e32 v23, -0.5, v27
	v_fma_f32 v27, -0.5, v41, v0
	v_fma_f32 v41, -0.5, v72, v0
	;; [unrolled: 1-line block ×6, first 2 shown]
	v_sub_f32_e32 v4, v4, v16
	v_dual_sub_f32 v26, v26, v60 :: v_dual_sub_f32 v113, v59, v37
	v_dual_add_f32 v78, v78, v79 :: v_dual_add_f32 v73, v73, v74
	v_sub_f32_e32 v74, v60, v38
	v_fma_f32 v21, -0.5, v25, v21
	s_delay_alu instid0(VALU_DEP_4)
	v_add_f32_e32 v90, v90, v113
	v_fma_f32 v88, -0.5, v93, v2
	v_fma_f32 v25, -0.5, v109, v22
	;; [unrolled: 1-line block ×3, first 2 shown]
	v_add_f32_e32 v0, v8, v12
	v_add_f32_e32 v81, v116, v81
	v_dual_add_f32 v1, v9, v13 :: v_dual_add_f32 v8, v10, v14
	v_dual_add_f32 v9, v11, v15 :: v_dual_add_f32 v10, v28, v36
	v_fmamk_f32 v36, v24, 0x3f737871, v83
	v_fmamk_f32 v28, v68, 0xbf737871, v27
	v_fmac_f32_e32 v27, 0x3f737871, v68
	v_fmamk_f32 v14, v75, 0xbf737871, v80
	v_fmac_f32_e32 v80, 0x3f737871, v75
	v_fmac_f32_e32 v83, 0xbf737871, v24
	v_dual_sub_f32 v79, v38, v60 :: v_dual_add_f32 v74, v111, v74
	v_fma_f32 v99, -0.5, v99, v3
	v_fmac_f32_e32 v3, -0.5, v7
	v_fma_f32 v20, -0.5, v92, v20
	v_dual_add_f32 v40, v40, v98 :: v_dual_add_f32 v11, v29, v37
	v_add_f32_e32 v12, v30, v38
	v_dual_fmamk_f32 v38, v94, 0xbf737871, v88 :: v_dual_add_f32 v13, v31, v39
	v_fmac_f32_e32 v88, 0x3f737871, v94
	v_fmamk_f32 v30, v4, 0x3f737871, v72
	v_dual_fmamk_f32 v31, v77, 0xbf737871, v76 :: v_dual_fmamk_f32 v92, v100, 0xbf737871, v3
	v_dual_fmamk_f32 v37, v89, 0xbf737871, v21 :: v_dual_add_f32 v8, v8, v18
	v_dual_fmac_f32 v21, 0x3f737871, v89 :: v_dual_add_f32 v10, v10, v58
	v_fmamk_f32 v98, v110, 0x3f737871, v22
	v_fmac_f32_e32 v22, 0xbf737871, v110
	v_dual_fmac_f32 v27, 0x3f167918, v69 :: v_dual_fmac_f32 v80, 0x3f167918, v84
	v_dual_fmac_f32 v83, 0xbf167918, v89 :: v_dual_fmac_f32 v38, 0xbf167918, v95
	v_fma_f32 v2, -0.5, v104, v2
	v_dual_fmamk_f32 v29, v69, 0x3f737871, v41 :: v_dual_add_f32 v16, v0, v16
	v_fmac_f32_e32 v41, 0xbf737871, v69
	v_fmamk_f32 v15, v84, 0x3f737871, v20
	v_fmac_f32_e32 v20, 0xbf737871, v84
	v_dual_fmac_f32 v31, 0x3f167918, v4 :: v_dual_fmac_f32 v36, 0x3f167918, v89
	v_dual_fmac_f32 v80, 0x3e9e377a, v85 :: v_dual_fmac_f32 v83, 0x3e9e377a, v90
	v_fmac_f32_e32 v21, 0xbf167918, v24
	v_dual_add_f32 v7, v102, v107 :: v_dual_fmac_f32 v72, 0xbf737871, v4
	v_dual_fmamk_f32 v39, v95, 0x3f737871, v2 :: v_dual_add_f32 v12, v12, v60
	v_dual_fmac_f32 v2, 0xbf737871, v95 :: v_dual_add_f32 v13, v13, v61
	v_fmac_f32_e32 v14, 0xbf167918, v84
	v_dual_fmac_f32 v41, 0x3f167918, v68 :: v_dual_fmac_f32 v20, 0x3f167918, v75
	v_dual_fmac_f32 v37, 0x3f167918, v24 :: v_dual_fmac_f32 v88, 0x3f167918, v95
	v_dual_fmac_f32 v36, 0x3e9e377a, v90 :: v_dual_fmac_f32 v21, 0x3e9e377a, v71
	v_dual_fmamk_f32 v87, v6, 0x3f737871, v99 :: v_dual_add_f32 v0, v16, v10
	v_fmamk_f32 v102, v26, 0x3f737871, v101
	s_delay_alu instid0(VALU_DEP_3)
	v_dual_fmac_f32 v101, 0xbf737871, v26 :: v_dual_mul_f32 v24, 0xbf737871, v21
	v_dual_add_f32 v9, v9, v19 :: v_dual_fmac_f32 v28, 0xbf167918, v69
	v_dual_add_f32 v11, v11, v59 :: v_dual_fmac_f32 v30, 0x3f167918, v77
	v_dual_fmac_f32 v29, 0xbf167918, v68 :: v_dual_fmac_f32 v72, 0xbf167918, v77
	v_dual_fmac_f32 v15, 0xbf167918, v75 :: v_dual_fmac_f32 v98, 0xbf167918, v82
	v_dual_fmac_f32 v39, 0xbf167918, v94 :: v_dual_mul_f32 v18, 0xbf167918, v36
	s_delay_alu instid0(VALU_DEP_2)
	v_dual_fmac_f32 v14, 0x3e9e377a, v85 :: v_dual_fmac_f32 v15, 0x3e9e377a, v86
	v_dual_fmac_f32 v20, 0x3e9e377a, v86 :: v_dual_fmac_f32 v37, 0x3e9e377a, v71
	v_dual_add_f32 v79, v112, v79 :: v_dual_fmac_f32 v76, 0x3f737871, v77
	v_fmamk_f32 v103, v115, 0xbf737871, v23
	v_dual_fmac_f32 v2, 0x3f167918, v94 :: v_dual_fmac_f32 v87, 0x3f167918, v100
	v_dual_fmac_f32 v28, 0x3e9e377a, v70 :: v_dual_fmac_f32 v29, 0x3e9e377a, v73
	;; [unrolled: 1-line block ×4, first 2 shown]
	v_fmac_f32_e32 v18, 0x3f4f1bbd, v14
	v_fmac_f32_e32 v23, 0x3f737871, v115
	v_fmac_f32_e32 v24, 0xbe9e377a, v20
	v_mul_f32_e32 v19, 0xbf737871, v37
	v_fmac_f32_e32 v3, 0x3f737871, v100
	v_dual_add_f32 v17, v1, v17 :: v_dual_fmac_f32 v76, 0xbf167918, v4
	v_sub_f32_e32 v4, v16, v10
	v_dual_fmac_f32 v88, 0x3e9e377a, v91 :: v_dual_fmac_f32 v87, 0x3e9e377a, v97
	v_mul_f32_e32 v58, 0xbe9e377a, v21
	v_dual_fmac_f32 v19, 0x3e9e377a, v15 :: v_dual_add_f32 v10, v28, v18
	v_fmac_f32_e32 v23, 0xbf167918, v26
	v_fmamk_f32 v93, v82, 0xbf737871, v25
	s_delay_alu instid0(VALU_DEP_4) | instskip(SKIP_1) | instid1(VALU_DEP_4)
	v_dual_fmac_f32 v25, 0x3f737871, v82 :: v_dual_fmac_f32 v58, 0x3f737871, v20
	v_dual_fmac_f32 v27, 0x3e9e377a, v70 :: v_dual_fmac_f32 v76, 0x3e9e377a, v5
	v_dual_sub_f32 v20, v29, v19 :: v_dual_fmac_f32 v23, 0x3e9e377a, v40
	v_dual_fmac_f32 v92, 0x3f167918, v6 :: v_dual_add_f32 v1, v17, v11
	v_fmac_f32_e32 v3, 0xbf167918, v6
	v_dual_fmac_f32 v99, 0xbf737871, v6 :: v_dual_add_f32 v6, v8, v12
	s_delay_alu instid0(VALU_DEP_4) | instskip(SKIP_4) | instid1(VALU_DEP_4)
	v_mul_f32_e32 v68, 0xbf737871, v23
	v_fmac_f32_e32 v103, 0x3f167918, v26
	v_mul_f32_e32 v26, 0xbf167918, v83
	v_dual_fmac_f32 v25, 0x3f167918, v110 :: v_dual_fmac_f32 v102, 0x3f167918, v115
	v_dual_fmac_f32 v22, 0x3f167918, v82 :: v_dual_sub_f32 v5, v17, v11
	v_fmac_f32_e32 v103, 0x3e9e377a, v40
	v_dual_sub_f32 v8, v8, v12 :: v_dual_fmac_f32 v93, 0xbf167918, v110
	v_mul_f32_e32 v59, 0xbf4f1bbd, v83
	v_mul_f32_e32 v40, 0x3f167918, v14
	v_fmac_f32_e32 v26, 0xbf4f1bbd, v80
	v_fmac_f32_e32 v101, 0xbf167918, v115
	v_add_f32_e32 v12, v29, v19
	v_dual_fmac_f32 v3, 0x3e9e377a, v7 :: v_dual_fmac_f32 v102, 0x3e9e377a, v81
	v_add_f32_e32 v14, v41, v24
	v_dual_fmac_f32 v92, 0x3e9e377a, v7 :: v_dual_fmac_f32 v93, 0x3e9e377a, v74
	v_dual_add_f32 v7, v9, v13 :: v_dual_add_f32 v16, v27, v26
	v_dual_fmac_f32 v22, 0x3e9e377a, v79 :: v_dual_fmac_f32 v101, 0x3e9e377a, v81
	v_dual_fmac_f32 v99, 0xbf167918, v100 :: v_dual_mul_f32 v60, 0xbf167918, v102
	v_dual_fmac_f32 v25, 0x3e9e377a, v74 :: v_dual_fmac_f32 v98, 0x3e9e377a, v79
	s_delay_alu instid0(VALU_DEP_3)
	v_mul_f32_e32 v74, 0xbf4f1bbd, v101
	v_fmac_f32_e32 v59, 0x3f167918, v80
	v_dual_sub_f32 v9, v9, v13 :: v_dual_fmac_f32 v40, 0x3f4f1bbd, v36
	v_dual_fmac_f32 v38, 0x3e9e377a, v91 :: v_dual_fmac_f32 v39, 0x3e9e377a, v96
	v_dual_fmac_f32 v2, 0x3e9e377a, v96 :: v_dual_fmac_f32 v99, 0x3e9e377a, v97
	v_mul_f32_e32 v70, 0x3f167918, v93
	v_mul_f32_e32 v73, 0xbe9e377a, v23
	v_fmac_f32_e32 v60, 0x3f4f1bbd, v93
	v_mul_f32_e32 v37, 0x3e9e377a, v37
	v_dual_fmac_f32 v68, 0xbe9e377a, v22 :: v_dual_add_f32 v17, v72, v59
	v_dual_add_f32 v11, v30, v40 :: v_dual_sub_f32 v18, v28, v18
	v_mul_f32_e32 v61, 0xbf737871, v103
	v_dual_fmac_f32 v70, 0x3f4f1bbd, v102 :: v_dual_sub_f32 v19, v30, v40
	v_dual_fmac_f32 v73, 0x3f737871, v22 :: v_dual_sub_f32 v22, v41, v24
	v_sub_f32_e32 v24, v27, v26
	v_add_f32_e32 v26, v38, v60
	v_dual_add_f32 v30, v2, v68 :: v_dual_fmac_f32 v61, 0x3e9e377a, v98
	v_dual_sub_f32 v2, v2, v68 :: v_dual_mul_f32 v71, 0x3e9e377a, v103
	v_fmac_f32_e32 v37, 0x3f737871, v15
	s_delay_alu instid0(VALU_DEP_3) | instskip(SKIP_4) | instid1(VALU_DEP_4)
	v_dual_add_f32 v15, v76, v58 :: v_dual_sub_f32 v40, v39, v61
	v_dual_mul_f32 v69, 0xbf167918, v101 :: v_dual_sub_f32 v38, v38, v60
	v_add_f32_e32 v28, v39, v61
	v_lshlrev_b32_e32 v68, 3, v44
	v_dual_fmac_f32 v74, 0x3f167918, v25 :: v_dual_sub_f32 v23, v76, v58
	v_fmac_f32_e32 v69, 0xbf4f1bbd, v25
	v_fmac_f32_e32 v71, 0x3f737871, v98
	v_add_f32_e32 v13, v31, v37
	v_sub_f32_e32 v21, v31, v37
	v_sub_f32_e32 v25, v72, v59
	v_add_f32_e32 v27, v87, v70
	v_add_f32_e32 v31, v3, v73
	v_sub_f32_e32 v58, v88, v69
	v_add_f32_e32 v29, v92, v71
	v_sub_f32_e32 v39, v87, v70
	v_sub_f32_e32 v41, v92, v71
	;; [unrolled: 1-line block ×3, first 2 shown]
	s_barrier
	buffer_gl0_inv
	v_dual_add_f32 v36, v88, v69 :: v_dual_add_f32 v37, v99, v74
	v_sub_f32_e32 v59, v99, v74
	ds_store_2addr_b64 v42, v[0:1], v[10:11] offset1:1
	ds_store_2addr_b64 v42, v[12:13], v[14:15] offset0:2 offset1:3
	ds_store_2addr_b64 v42, v[16:17], v[4:5] offset0:4 offset1:5
	;; [unrolled: 1-line block ×4, first 2 shown]
	ds_store_2addr_b64 v55, v[6:7], v[26:27] offset1:1
	ds_store_2addr_b64 v62, v[28:29], v[30:31] offset1:1
	;; [unrolled: 1-line block ×5, first 2 shown]
	s_waitcnt lgkmcnt(0)
	s_barrier
	buffer_gl0_inv
	s_clause 0x9
	global_load_b128 v[28:31], v66, s[4:5]
	global_load_b128 v[24:27], v67, s[4:5]
	global_load_b128 v[20:23], v66, s[4:5] offset:16
	global_load_b128 v[16:19], v67, s[4:5] offset:16
	;; [unrolled: 1-line block ×5, first 2 shown]
	global_load_b64 v[38:39], v66, s[4:5] offset:64
	global_load_b128 v[0:3], v67, s[4:5] offset:48
	global_load_b64 v[40:41], v67, s[4:5] offset:64
	v_lshrrev_b16 v36, 2, v56
	v_add_nc_u32_e32 v37, 0xffffff9c, v32
	v_and_b32_e32 v57, 0xffff, v57
	v_mul_u32_u24_e32 v67, 0x320, v43
	v_lshlrev_b32_e32 v45, 3, v45
	v_and_b32_e32 v36, 0xffff, v36
	v_cndmask_b32_e64 v42, v37, v32, s0
	v_mov_b32_e32 v37, 0
	v_mul_u32_u24_e32 v66, 0x320, v57
	v_add3_u32 v45, 0, v67, v45
	v_mul_u32_u24_e32 v36, 0x147b, v36
	s_delay_alu instid0(VALU_DEP_3) | instskip(NEXT) | instid1(VALU_DEP_2)
	v_add3_u32 v96, 0, v66, v68
	v_lshrrev_b32_e32 v55, 17, v36
	v_mul_i32_i24_e32 v36, 9, v42
	v_lshlrev_b32_e32 v42, 3, v42
	s_delay_alu instid0(VALU_DEP_3) | instskip(NEXT) | instid1(VALU_DEP_3)
	v_mul_lo_u16 v58, 0x64, v55
	v_lshlrev_b64 v[64:65], 3, v[36:37]
	v_mul_u32_u24_e32 v55, 0x1f40, v55
	s_delay_alu instid0(VALU_DEP_3) | instskip(NEXT) | instid1(VALU_DEP_3)
	v_sub_nc_u16 v56, v56, v58
	v_add_co_u32 v43, s0, s4, v64
	s_delay_alu instid0(VALU_DEP_1) | instskip(NEXT) | instid1(VALU_DEP_3)
	v_add_co_ci_u32_e64 v44, s0, s5, v65, s0
	v_and_b32_e32 v36, 0xffff, v56
	ds_load_2addr_b64 v[56:59], v48 offset0:16 offset1:216
	ds_load_2addr_b64 v[60:63], v33 offset0:32 offset1:232
	;; [unrolled: 1-line block ×3, first 2 shown]
	v_cmp_lt_u32_e64 s0, 0x63, v32
	v_mul_u32_u24_e32 v69, 9, v36
	v_lshlrev_b32_e32 v36, 3, v36
	s_delay_alu instid0(VALU_DEP_2)
	v_lshlrev_b32_e32 v97, 3, v69
	ds_load_2addr_b64 v[68:71], v47 offset1:200
	ds_load_2addr_b64 v[72:75], v52 offset0:16 offset1:216
	ds_load_2addr_b64 v[76:79], v49 offset0:32 offset1:232
	;; [unrolled: 1-line block ×3, first 2 shown]
	ds_load_2addr_b64 v[84:87], v54 offset1:200
	ds_load_2addr_b64 v[88:91], v53 offset0:16 offset1:216
	ds_load_2addr_b64 v[92:95], v46 offset1:200
	v_add3_u32 v36, 0, v55, v36
	s_waitcnt vmcnt(0) lgkmcnt(0)
	s_barrier
	buffer_gl0_inv
	v_mul_f32_e32 v98, v29, v57
	v_mul_f32_e32 v29, v29, v56
	v_mul_f32_e32 v102, v21, v65
	v_mul_f32_e32 v103, v69, v23
	v_dual_mul_f32 v106, v73, v13 :: v_dual_mul_f32 v23, v68, v23
	v_mul_f32_e32 v100, v59, v25
	v_fmac_f32_e32 v98, v28, v56
	v_mul_f32_e32 v56, v79, v11
	s_delay_alu instid0(VALU_DEP_4) | instskip(SKIP_2) | instid1(VALU_DEP_4)
	v_fmac_f32_e32 v106, v72, v12
	v_mul_f32_e32 v21, v21, v64
	v_dual_mul_f32 v99, v31, v61 :: v_dual_fmac_f32 v102, v20, v64
	v_fmac_f32_e32 v56, v78, v10
	v_mul_f32_e32 v104, v67, v17
	s_delay_alu instid0(VALU_DEP_4)
	v_fma_f32 v20, v20, v65, -v21
	v_fma_f32 v21, v69, v22, -v23
	v_mul_f32_e32 v31, v31, v60
	v_fmac_f32_e32 v99, v30, v60
	v_dual_fmac_f32 v100, v58, v24 :: v_dual_fmac_f32 v103, v68, v22
	v_mul_f32_e32 v25, v58, v25
	v_mul_f32_e32 v58, v83, v1
	;; [unrolled: 1-line block ×4, first 2 shown]
	v_fma_f32 v28, v28, v57, -v29
	v_mul_f32_e32 v17, v66, v17
	v_fma_f32 v29, v30, v61, -v31
	v_mul_f32_e32 v31, v75, v9
	v_mul_f32_e32 v27, v62, v27
	v_mul_f32_e32 v9, v74, v9
	v_mul_f32_e32 v11, v78, v11
	v_fmac_f32_e32 v104, v66, v16
	v_fmac_f32_e32 v31, v74, v8
	;; [unrolled: 1-line block ×3, first 2 shown]
	v_dual_fmac_f32 v101, v62, v26 :: v_dual_add_f32 v62, v28, v20
	v_fma_f32 v16, v67, v16, -v17
	v_mul_f32_e32 v1, v82, v1
	v_fma_f32 v8, v75, v8, -v9
	v_fma_f32 v9, v79, v10, -v11
	v_sub_f32_e32 v10, v103, v99
	v_fma_f32 v24, v59, v24, -v25
	v_fma_f32 v0, v83, v0, -v1
	v_mul_f32_e32 v59, v87, v3
	v_dual_mul_f32 v105, v71, v19 :: v_dual_sub_f32 v60, v106, v102
	v_mul_f32_e32 v30, v77, v15
	v_dual_mul_f32 v3, v86, v3 :: v_dual_add_f32 v112, v93, v29
	s_delay_alu instid0(VALU_DEP_4) | instskip(SKIP_4) | instid1(VALU_DEP_4)
	v_fmac_f32_e32 v59, v86, v2
	v_mul_f32_e32 v13, v72, v13
	v_mul_f32_e32 v23, v90, v41
	v_dual_fmac_f32 v22, v90, v40 :: v_dual_mul_f32 v25, v81, v5
	v_dual_mul_f32 v57, v89, v39 :: v_dual_add_f32 v86, v100, v104
	v_fma_f32 v12, v73, v12, -v13
	v_dual_mul_f32 v19, v70, v19 :: v_dual_fmac_f32 v30, v76, v14
	v_fma_f32 v1, v87, v2, -v3
	v_fma_f32 v2, v91, v40, -v23
	s_delay_alu instid0(VALU_DEP_4) | instskip(NEXT) | instid1(VALU_DEP_4)
	v_sub_f32_e32 v64, v20, v12
	v_fma_f32 v17, v71, v18, -v19
	v_mul_f32_e32 v15, v76, v15
	v_dual_fmac_f32 v105, v70, v18 :: v_dual_sub_f32 v18, v21, v29
	v_fma_f32 v26, v63, v26, -v27
	v_dual_mul_f32 v27, v85, v7 :: v_dual_sub_f32 v82, v22, v58
	v_mul_f32_e32 v5, v80, v5
	v_dual_mul_f32 v7, v84, v7 :: v_dual_add_f32 v74, v17, v9
	v_fma_f32 v13, v77, v14, -v15
	s_delay_alu instid0(VALU_DEP_4) | instskip(SKIP_2) | instid1(VALU_DEP_4)
	v_dual_sub_f32 v14, v29, v21 :: v_dual_fmac_f32 v27, v84, v6
	v_fmac_f32_e32 v57, v88, v38
	v_sub_f32_e32 v78, v17, v26
	v_dual_add_f32 v114, v21, v13 :: v_dual_mul_f32 v39, v88, v39
	s_delay_alu instid0(VALU_DEP_4)
	v_dual_add_f32 v110, v103, v30 :: v_dual_sub_f32 v11, v30, v27
	v_fmac_f32_e32 v25, v80, v4
	v_fma_f32 v4, v81, v4, -v5
	v_sub_f32_e32 v88, v2, v0
	v_fma_f32 v5, v85, v6, -v7
	v_fma_f32 v6, v89, v38, -v39
	v_sub_f32_e32 v67, v12, v20
	v_sub_f32_e32 v79, v9, v1
	;; [unrolled: 1-line block ×3, first 2 shown]
	s_delay_alu instid0(VALU_DEP_4) | instskip(SKIP_3) | instid1(VALU_DEP_4)
	v_dual_sub_f32 v19, v13, v5 :: v_dual_add_f32 v66, v20, v6
	v_sub_f32_e32 v20, v20, v6
	v_add_f32_e32 v10, v10, v11
	v_add_f32_e32 v38, v106, v25
	v_dual_add_f32 v18, v18, v19 :: v_dual_sub_f32 v61, v25, v57
	v_dual_sub_f32 v40, v57, v25 :: v_dual_add_f32 v63, v12, v4
	s_delay_alu instid0(VALU_DEP_3)
	v_fma_f32 v38, -0.5, v38, v98
	v_sub_f32_e32 v111, v103, v30
	v_add_f32_e32 v83, v104, v22
	v_add_f32_e32 v41, v102, v57
	;; [unrolled: 1-line block ×3, first 2 shown]
	v_dual_sub_f32 v72, v56, v59 :: v_dual_sub_f32 v39, v102, v106
	s_delay_alu instid0(VALU_DEP_3) | instskip(SKIP_1) | instid1(VALU_DEP_3)
	v_dual_add_f32 v23, v98, v102 :: v_dual_fmac_f32 v98, -0.5, v41
	v_dual_sub_f32 v41, v31, v58 :: v_dual_sub_f32 v102, v102, v57
	v_dual_add_f32 v39, v39, v40 :: v_dual_sub_f32 v40, v17, v9
	v_sub_f32_e32 v115, v106, v25
	v_fma_f32 v63, -0.5, v63, v28
	v_dual_fmac_f32 v28, -0.5, v66 :: v_dual_add_f32 v91, v24, v16
	v_dual_sub_f32 v70, v59, v56 :: v_dual_sub_f32 v75, v26, v17
	v_add_f32_e32 v80, v31, v58
	v_sub_f32_e32 v84, v31, v104
	v_sub_f32_e32 v87, v16, v8
	;; [unrolled: 1-line block ×3, first 2 shown]
	v_add_f32_e32 v89, v8, v0
	v_sub_f32_e32 v107, v8, v16
	v_dual_sub_f32 v108, v0, v2 :: v_dual_sub_f32 v71, v105, v101
	v_sub_f32_e32 v61, v8, v0
	v_dual_add_f32 v8, v91, v8 :: v_dual_sub_f32 v15, v5, v13
	v_sub_f32_e32 v85, v58, v22
	v_add_f32_e32 v90, v16, v2
	v_add_f32_e32 v109, v92, v99
	v_sub_f32_e32 v16, v16, v2
	v_add_f32_e32 v0, v8, v0
	v_fmamk_f32 v8, v20, 0xbf737871, v38
	v_dual_fmac_f32 v38, 0x3f737871, v20 :: v_dual_add_f32 v69, v69, v70
	v_add_f32_e32 v70, v71, v72
	v_add_f32_e32 v71, v75, v76
	v_fma_f32 v76, -0.5, v80, v100
	v_add_f32_e32 v11, v94, v101
	v_sub_f32_e32 v65, v6, v4
	v_dual_add_f32 v73, v95, v26 :: v_dual_add_f32 v14, v14, v15
	v_dual_sub_f32 v7, v27, v30 :: v_dual_sub_f32 v66, v29, v5
	s_delay_alu instid0(VALU_DEP_4) | instskip(SKIP_3) | instid1(VALU_DEP_4)
	v_add_f32_e32 v11, v11, v105
	v_add_f32_e32 v15, v105, v56
	v_sub_f32_e32 v19, v105, v56
	v_fma_f32 v72, -0.5, v74, v95
	v_dual_add_f32 v74, v78, v79 :: v_dual_add_f32 v11, v11, v56
	v_fmamk_f32 v56, v102, 0x3f737871, v63
	v_fma_f32 v79, -0.5, v89, v24
	v_dual_fmac_f32 v24, -0.5, v90 :: v_dual_sub_f32 v3, v99, v103
	v_add_f32_e32 v64, v64, v65
	s_delay_alu instid0(VALU_DEP_2)
	v_dual_sub_f32 v68, v4, v6 :: v_dual_add_f32 v3, v3, v7
	v_sub_f32_e32 v7, v12, v4
	v_add_f32_e32 v12, v62, v12
	v_fma_f32 v62, -0.5, v110, v92
	v_sub_f32_e32 v81, v104, v31
	v_dual_sub_f32 v104, v104, v22 :: v_dual_add_f32 v31, v86, v31
	v_fmamk_f32 v86, v16, 0xbf737871, v76
	v_fmac_f32_e32 v76, 0x3f737871, v16
	v_fmamk_f32 v89, v41, 0xbf737871, v24
	v_fmac_f32_e32 v24, 0x3f737871, v41
	v_add_f32_e32 v17, v73, v17
	v_dual_add_f32 v77, v26, v1 :: v_dual_add_f32 v4, v12, v4
	v_dual_sub_f32 v26, v26, v1 :: v_dual_add_f32 v67, v67, v68
	v_add_f32_e32 v68, v101, v59
	v_dual_sub_f32 v101, v101, v59 :: v_dual_fmac_f32 v24, 0xbf167918, v104
	v_add_f32_e32 v9, v17, v9
	v_fmamk_f32 v17, v66, 0xbf737871, v62
	v_fmac_f32_e32 v62, 0x3f737871, v66
	v_add_f32_e32 v75, v81, v82
	v_add_f32_e32 v81, v109, v103
	v_fma_f32 v82, -0.5, v15, v94
	v_sub_f32_e32 v113, v21, v13
	v_dual_fmac_f32 v95, -0.5, v77 :: v_dual_add_f32 v4, v4, v6
	s_delay_alu instid0(VALU_DEP_4) | instskip(NEXT) | instid1(VALU_DEP_4)
	v_add_f32_e32 v15, v81, v30
	v_fmamk_f32 v81, v26, 0xbf737871, v82
	v_dual_fmac_f32 v82, 0x3f737871, v26 :: v_dual_add_f32 v77, v84, v85
	v_fmamk_f32 v84, v101, 0x3f737871, v72
	v_fmac_f32_e32 v72, 0xbf737871, v101
	v_fmac_f32_e32 v62, 0x3f167918, v113
	s_delay_alu instid0(VALU_DEP_4)
	v_fmac_f32_e32 v82, 0x3f167918, v40
	v_fmac_f32_e32 v86, 0xbf167918, v61
	v_add_f32_e32 v12, v31, v58
	v_fmamk_f32 v31, v7, 0x3f737871, v98
	v_fmac_f32_e32 v98, 0xbf737871, v7
	v_add_f32_e32 v65, v99, v27
	v_sub_f32_e32 v99, v99, v27
	v_dual_add_f32 v29, v29, v5 :: v_dual_add_f32 v78, v87, v88
	v_fma_f32 v68, -0.5, v68, v94
	v_fmamk_f32 v88, v104, 0x3f737871, v79
	v_dual_add_f32 v21, v112, v21 :: v_dual_fmac_f32 v84, 0x3f167918, v19
	s_delay_alu instid0(VALU_DEP_4) | instskip(SKIP_1) | instid1(VALU_DEP_3)
	v_fma_f32 v29, -0.5, v29, v93
	v_dual_add_f32 v23, v23, v106 :: v_dual_fmac_f32 v72, 0xbf167918, v19
	v_dual_add_f32 v13, v21, v13 :: v_dual_fmac_f32 v62, 0x3e9e377a, v3
	s_delay_alu instid0(VALU_DEP_3)
	v_fmamk_f32 v30, v111, 0xbf737871, v29
	v_fmac_f32_e32 v100, -0.5, v83
	v_fmamk_f32 v83, v40, 0x3f737871, v68
	v_fmac_f32_e32 v68, 0xbf737871, v40
	v_fmac_f32_e32 v98, 0x3f167918, v20
	v_fma_f32 v65, -0.5, v65, v92
	v_dual_fmac_f32 v30, 0x3f167918, v99 :: v_dual_add_f32 v21, v23, v25
	v_fmac_f32_e32 v56, 0x3f167918, v115
	v_fmamk_f32 v58, v115, 0xbf737871, v28
	v_fmac_f32_e32 v8, 0xbf167918, v7
	s_delay_alu instid0(VALU_DEP_4)
	v_fmac_f32_e32 v30, 0x3e9e377a, v18
	v_dual_fmac_f32 v38, 0x3f167918, v7 :: v_dual_add_f32 v5, v13, v5
	v_dual_add_f32 v13, v21, v57 :: v_dual_fmac_f32 v56, 0x3e9e377a, v64
	v_dual_fmac_f32 v76, 0x3f167918, v61 :: v_dual_add_f32 v15, v15, v27
	v_fmac_f32_e32 v98, 0x3e9e377a, v60
	v_fmamk_f32 v23, v113, 0x3f737871, v65
	v_fmac_f32_e32 v88, 0x3f167918, v41
	v_fmac_f32_e32 v28, 0x3f737871, v115
	;; [unrolled: 1-line block ×3, first 2 shown]
	v_dual_add_f32 v6, v11, v59 :: v_dual_add_f32 v11, v0, v2
	v_fmac_f32_e32 v82, 0x3e9e377a, v69
	v_dual_fmac_f32 v8, 0x3e9e377a, v39 :: v_dual_add_f32 v7, v9, v1
	s_delay_alu instid0(VALU_DEP_4)
	v_fmac_f32_e32 v58, 0x3e9e377a, v67
	v_dual_fmac_f32 v38, 0x3e9e377a, v39 :: v_dual_add_f32 v1, v5, v4
	v_fmac_f32_e32 v88, 0x3e9e377a, v78
	v_dual_sub_f32 v2, v15, v13 :: v_dual_fmac_f32 v23, 0xbf167918, v66
	v_fmac_f32_e32 v28, 0xbf167918, v102
	v_fmac_f32_e32 v84, 0x3e9e377a, v71
	;; [unrolled: 1-line block ×3, first 2 shown]
	v_add_f32_e32 v9, v12, v22
	v_fmac_f32_e32 v23, 0x3e9e377a, v10
	v_fmamk_f32 v87, v61, 0x3f737871, v100
	v_fmac_f32_e32 v100, 0xbf737871, v61
	v_fmac_f32_e32 v28, 0x3e9e377a, v67
	v_add_f32_e32 v0, v15, v13
	v_fmac_f32_e32 v17, 0xbf167918, v113
	v_fmac_f32_e32 v87, 0xbf167918, v16
	;; [unrolled: 1-line block ×3, first 2 shown]
	v_mul_f32_e32 v16, 0xbf167918, v56
	v_fmamk_f32 v85, v19, 0xbf737871, v95
	v_dual_fmac_f32 v17, 0x3e9e377a, v3 :: v_dual_fmac_f32 v68, 0x3e9e377a, v70
	v_fmac_f32_e32 v65, 0xbf737871, v113
	s_delay_alu instid0(VALU_DEP_4)
	v_fmac_f32_e32 v16, 0x3f4f1bbd, v8
	v_fmac_f32_e32 v95, 0x3f737871, v19
	v_mul_f32_e32 v19, 0xbf737871, v28
	v_mul_f32_e32 v28, 0xbe9e377a, v28
	v_fmac_f32_e32 v72, 0x3e9e377a, v71
	v_add_f32_e32 v80, v107, v108
	v_fmac_f32_e32 v86, 0x3e9e377a, v75
	v_fmac_f32_e32 v19, 0xbe9e377a, v98
	v_dual_fmac_f32 v29, 0x3f737871, v111 :: v_dual_fmac_f32 v28, 0x3f737871, v98
	s_delay_alu instid0(VALU_DEP_4) | instskip(SKIP_2) | instid1(VALU_DEP_4)
	v_fmac_f32_e32 v24, 0x3e9e377a, v80
	v_fmac_f32_e32 v63, 0xbf737871, v102
	v_fma_f32 v73, -0.5, v114, v93
	v_fmac_f32_e32 v29, 0xbf167918, v99
	v_fmac_f32_e32 v76, 0x3e9e377a, v75
	v_mul_f32_e32 v61, 0xbe9e377a, v24
	v_mul_f32_e32 v27, 0x3e9e377a, v58
	v_fmamk_f32 v25, v99, 0x3f737871, v73
	v_fmac_f32_e32 v29, 0x3e9e377a, v18
	v_mul_f32_e32 v18, 0xbf737871, v58
	v_fmac_f32_e32 v65, 0x3f167918, v66
	v_fmac_f32_e32 v73, 0xbf737871, v99
	;; [unrolled: 1-line block ×3, first 2 shown]
	v_mul_f32_e32 v59, 0x3f4f1bbd, v88
	v_add_f32_e32 v13, v29, v28
	v_fmac_f32_e32 v65, 0x3e9e377a, v10
	v_fmac_f32_e32 v79, 0xbf737871, v104
	;; [unrolled: 1-line block ×4, first 2 shown]
	v_add_nc_u32_e32 v106, 0x800, v36
	v_dual_add_f32 v12, v65, v19 :: v_dual_fmac_f32 v83, 0xbf167918, v26
	v_mul_f32_e32 v26, 0x3f4f1bbd, v56
	v_mul_f32_e32 v56, 0xbf737871, v24
	v_add_nc_u32_e32 v108, 0x1800, v36
	s_delay_alu instid0(VALU_DEP_4) | instskip(NEXT) | instid1(VALU_DEP_4)
	v_fmac_f32_e32 v83, 0x3e9e377a, v70
	v_fmac_f32_e32 v26, 0x3f167918, v8
	v_add_f32_e32 v8, v17, v16
	v_dual_fmac_f32 v31, 0xbf167918, v20 :: v_dual_sub_f32 v20, v65, v19
	v_fmac_f32_e32 v79, 0xbf167918, v41
	v_fmac_f32_e32 v56, 0xbe9e377a, v100
	s_delay_alu instid0(VALU_DEP_3) | instskip(SKIP_1) | instid1(VALU_DEP_4)
	v_fmac_f32_e32 v31, 0x3e9e377a, v60
	v_sub_f32_e32 v3, v5, v4
	v_dual_fmac_f32 v79, 0x3e9e377a, v78 :: v_dual_add_f32 v4, v6, v9
	v_sub_f32_e32 v6, v6, v9
	s_delay_alu instid0(VALU_DEP_4) | instskip(NEXT) | instid1(VALU_DEP_1)
	v_fmac_f32_e32 v18, 0x3e9e377a, v31
	v_dual_mul_f32 v57, 0xbf167918, v79 :: v_dual_add_f32 v10, v23, v18
	v_fmac_f32_e32 v81, 0xbf167918, v40
	v_dual_mul_f32 v40, 0xbf167918, v88 :: v_dual_add_f32 v5, v7, v11
	s_delay_alu instid0(VALU_DEP_3) | instskip(SKIP_1) | instid1(VALU_DEP_4)
	v_fmac_f32_e32 v57, 0xbf4f1bbd, v76
	v_sub_f32_e32 v7, v7, v11
	v_fmac_f32_e32 v81, 0x3e9e377a, v69
	s_delay_alu instid0(VALU_DEP_4) | instskip(SKIP_2) | instid1(VALU_DEP_3)
	v_fmac_f32_e32 v40, 0x3f4f1bbd, v86
	v_fmac_f32_e32 v63, 0xbf167918, v115
	v_dual_fmac_f32 v25, 0x3f167918, v111 :: v_dual_sub_f32 v58, v82, v57
	v_dual_fmac_f32 v87, 0x3e9e377a, v77 :: v_dual_add_f32 v24, v81, v40
	s_delay_alu instid0(VALU_DEP_3) | instskip(NEXT) | instid1(VALU_DEP_3)
	v_fmac_f32_e32 v63, 0x3e9e377a, v64
	v_fmac_f32_e32 v25, 0x3e9e377a, v14
	s_delay_alu instid0(VALU_DEP_2) | instskip(SKIP_2) | instid1(VALU_DEP_4)
	v_dual_sub_f32 v18, v23, v18 :: v_dual_mul_f32 v21, 0xbf167918, v63
	v_mul_f32_e32 v39, 0xbf4f1bbd, v63
	v_mul_f32_e32 v63, 0xbf4f1bbd, v79
	v_add_f32_e32 v9, v25, v26
	s_delay_alu instid0(VALU_DEP_4) | instskip(SKIP_3) | instid1(VALU_DEP_4)
	v_dual_sub_f32 v16, v17, v16 :: v_dual_fmac_f32 v21, 0xbf4f1bbd, v38
	v_fmac_f32_e32 v95, 0xbf167918, v101
	v_sub_f32_e32 v17, v25, v26
	v_fmac_f32_e32 v39, 0x3f167918, v38
	v_dual_fmac_f32 v63, 0x3f167918, v76 :: v_dual_sub_f32 v22, v62, v21
	v_fmac_f32_e32 v89, 0x3f167918, v104
	v_fmac_f32_e32 v95, 0x3e9e377a, v74
	v_dual_add_f32 v25, v84, v59 :: v_dual_sub_f32 v38, v81, v40
	s_delay_alu instid0(VALU_DEP_3) | instskip(NEXT) | instid1(VALU_DEP_1)
	v_fmac_f32_e32 v89, 0x3e9e377a, v80
	v_mul_f32_e32 v41, 0xbf737871, v89
	v_mul_f32_e32 v60, 0x3e9e377a, v89
	v_fmac_f32_e32 v27, 0x3f737871, v31
	v_add_f32_e32 v31, v72, v63
	s_delay_alu instid0(VALU_DEP_4) | instskip(SKIP_3) | instid1(VALU_DEP_4)
	v_fmac_f32_e32 v41, 0x3e9e377a, v87
	v_fmac_f32_e32 v73, 0xbf167918, v111
	;; [unrolled: 1-line block ×3, first 2 shown]
	v_add_f32_e32 v11, v30, v27
	v_dual_sub_f32 v19, v30, v27 :: v_dual_add_f32 v26, v83, v41
	s_delay_alu instid0(VALU_DEP_4) | instskip(SKIP_2) | instid1(VALU_DEP_3)
	v_dual_fmac_f32 v73, 0x3e9e377a, v14 :: v_dual_add_f32 v14, v62, v21
	v_fmac_f32_e32 v85, 0x3f167918, v101
	v_sub_f32_e32 v21, v29, v28
	v_dual_add_f32 v28, v68, v56 :: v_dual_add_f32 v15, v73, v39
	v_sub_f32_e32 v23, v73, v39
	s_delay_alu instid0(VALU_DEP_4) | instskip(SKIP_2) | instid1(VALU_DEP_3)
	v_dual_fmac_f32 v85, 0x3e9e377a, v74 :: v_dual_add_f32 v30, v82, v57
	v_add_f32_e32 v29, v95, v61
	v_dual_sub_f32 v40, v83, v41 :: v_dual_sub_f32 v39, v84, v59
	v_add_f32_e32 v27, v85, v60
	v_sub_f32_e32 v41, v85, v60
	v_dual_sub_f32 v56, v68, v56 :: v_dual_sub_f32 v57, v95, v61
	v_sub_f32_e32 v59, v72, v63
	ds_store_2addr_b64 v96, v[0:1], v[8:9] offset1:10
	ds_store_2addr_b64 v96, v[10:11], v[12:13] offset0:20 offset1:30
	ds_store_2addr_b64 v96, v[14:15], v[2:3] offset0:40 offset1:50
	;; [unrolled: 1-line block ×4, first 2 shown]
	ds_store_2addr_b64 v45, v[4:5], v[24:25] offset1:10
	ds_store_2addr_b64 v45, v[26:27], v[28:29] offset0:20 offset1:30
	ds_store_2addr_b64 v45, v[30:31], v[6:7] offset0:40 offset1:50
	;; [unrolled: 1-line block ×4, first 2 shown]
	s_waitcnt lgkmcnt(0)
	s_barrier
	buffer_gl0_inv
	s_clause 0x9
	global_load_b128 v[28:31], v[43:44], off offset:720
	global_load_b128 v[24:27], v97, s[4:5] offset:720
	global_load_b128 v[20:23], v[43:44], off offset:736
	global_load_b128 v[16:19], v97, s[4:5] offset:736
	global_load_b128 v[12:15], v[43:44], off offset:752
	global_load_b128 v[8:11], v[43:44], off offset:768
	global_load_b64 v[38:39], v[43:44], off offset:784
	global_load_b128 v[4:7], v97, s[4:5] offset:752
	global_load_b128 v[0:3], v97, s[4:5] offset:768
	global_load_b64 v[40:41], v97, s[4:5] offset:784
	ds_load_2addr_b64 v[60:63], v48 offset0:16 offset1:216
	ds_load_2addr_b64 v[64:67], v33 offset0:32 offset1:232
	;; [unrolled: 1-line block ×3, first 2 shown]
	ds_load_2addr_b64 v[72:75], v47 offset1:200
	ds_load_2addr_b64 v[76:79], v52 offset0:16 offset1:216
	ds_load_2addr_b64 v[80:83], v49 offset0:32 offset1:232
	;; [unrolled: 1-line block ×3, first 2 shown]
	ds_load_2addr_b64 v[88:91], v54 offset1:200
	v_cndmask_b32_e64 v44, 0, 0x1f40, s0
	v_mul_u32_u24_e32 v43, 3, v32
	s_delay_alu instid0(VALU_DEP_2) | instskip(NEXT) | instid1(VALU_DEP_1)
	v_add3_u32 v59, 0, v44, v42
	v_add_nc_u32_e32 v102, 0x800, v59
	v_add_nc_u32_e32 v104, 0x1800, v59
	s_waitcnt vmcnt(9) lgkmcnt(6)
	v_mul_f32_e32 v110, v31, v65
	v_mul_f32_e32 v31, v31, v64
	s_waitcnt vmcnt(8)
	v_mul_f32_e32 v112, v67, v27
	s_delay_alu instid0(VALU_DEP_3)
	v_fmac_f32_e32 v110, v30, v64
	s_waitcnt vmcnt(7) lgkmcnt(4)
	v_mul_f32_e32 v64, v23, v73
	v_fma_f32 v31, v30, v65, -v31
	v_fmac_f32_e32 v112, v66, v26
	s_waitcnt vmcnt(6)
	s_delay_alu instid0(VALU_DEP_3) | instskip(SKIP_2) | instid1(VALU_DEP_2)
	v_dual_fmac_f32 v64, v22, v72 :: v_dual_mul_f32 v65, v71, v17
	v_mul_f32_e32 v17, v70, v17
	s_waitcnt vmcnt(1) lgkmcnt(1)
	v_dual_fmac_f32 v65, v70, v16 :: v_dual_mul_f32 v70, v87, v1
	s_delay_alu instid0(VALU_DEP_2) | instskip(SKIP_1) | instid1(VALU_DEP_3)
	v_fma_f32 v16, v71, v16, -v17
	v_mul_f32_e32 v17, v85, v9
	v_dual_mul_f32 v111, v63, v25 :: v_dual_fmac_f32 v70, v86, v0
	v_mul_f32_e32 v109, v29, v61
	v_mul_f32_e32 v29, v29, v60
	s_delay_alu instid0(VALU_DEP_4) | instskip(NEXT) | instid1(VALU_DEP_3)
	v_fmac_f32_e32 v17, v84, v8
	v_dual_fmac_f32 v109, v28, v60 :: v_dual_mul_f32 v60, v66, v27
	v_mul_f32_e32 v66, v75, v19
	s_delay_alu instid0(VALU_DEP_4) | instskip(SKIP_4) | instid1(VALU_DEP_2)
	v_fma_f32 v113, v28, v61, -v29
	v_mul_f32_e32 v19, v74, v19
	ds_load_2addr_b64 v[27:30], v53 offset0:16 offset1:216
	v_dual_fmac_f32 v66, v74, v18 :: v_dual_mul_f32 v9, v84, v9
	v_fma_f32 v18, v75, v18, -v19
	v_sub_f32_e32 v84, v66, v112
	s_delay_alu instid0(VALU_DEP_3) | instskip(SKIP_2) | instid1(VALU_DEP_2)
	v_fma_f32 v8, v85, v8, -v9
	v_mul_f32_e32 v1, v86, v1
	v_fmac_f32_e32 v111, v62, v24
	v_fma_f32 v0, v87, v0, -v1
	v_mul_f32_e32 v25, v62, v25
	s_delay_alu instid0(VALU_DEP_1)
	v_fma_f32 v24, v63, v24, -v25
	v_fma_f32 v25, v67, v26, -v60
	ds_load_2addr_b64 v[60:63], v46 offset1:200
	v_dual_mul_f32 v26, v21, v69 :: v_dual_mul_f32 v23, v23, v72
	s_waitcnt vmcnt(0) lgkmcnt(0)
	s_barrier
	buffer_gl0_inv
	v_fmac_f32_e32 v26, v20, v68
	v_dual_add_f32 v86, v63, v25 :: v_dual_mul_f32 v67, v89, v11
	v_mul_f32_e32 v11, v88, v11
	s_delay_alu instid0(VALU_DEP_2) | instskip(SKIP_2) | instid1(VALU_DEP_4)
	v_fmac_f32_e32 v67, v88, v10
	v_sub_f32_e32 v88, v25, v18
	v_dual_mul_f32 v21, v21, v68 :: v_dual_mul_f32 v68, v79, v5
	v_fma_f32 v9, v89, v10, -v11
	v_dual_mul_f32 v10, v29, v41 :: v_dual_sub_f32 v11, v64, v110
	s_delay_alu instid0(VALU_DEP_3) | instskip(SKIP_3) | instid1(VALU_DEP_2)
	v_fma_f32 v20, v20, v69, -v21
	v_fma_f32 v21, v22, v73, -v23
	v_dual_mul_f32 v22, v77, v13 :: v_dual_mul_f32 v69, v83, v7
	v_dual_fmac_f32 v68, v78, v4 :: v_dual_add_nc_u32 v103, 0x1000, v59
	v_fmac_f32_e32 v22, v76, v12
	v_mul_f32_e32 v13, v76, v13
	s_delay_alu instid0(VALU_DEP_4) | instskip(NEXT) | instid1(VALU_DEP_3)
	v_fmac_f32_e32 v69, v82, v6
	v_sub_f32_e32 v73, v22, v26
	s_delay_alu instid0(VALU_DEP_3) | instskip(SKIP_2) | instid1(VALU_DEP_3)
	v_fma_f32 v12, v77, v12, -v13
	v_mul_f32_e32 v23, v81, v15
	v_mul_f32_e32 v15, v80, v15
	v_add_f32_e32 v76, v12, v8
	s_delay_alu instid0(VALU_DEP_3) | instskip(NEXT) | instid1(VALU_DEP_3)
	v_fmac_f32_e32 v23, v80, v14
	v_fma_f32 v13, v81, v14, -v15
	v_mul_f32_e32 v14, v91, v3
	v_mul_f32_e32 v3, v90, v3
	v_dual_mul_f32 v15, v30, v41 :: v_dual_sub_f32 v80, v12, v20
	s_delay_alu instid0(VALU_DEP_3) | instskip(SKIP_1) | instid1(VALU_DEP_4)
	v_dual_sub_f32 v77, v20, v12 :: v_dual_fmac_f32 v14, v90, v2
	v_mul_f32_e32 v5, v78, v5
	v_fma_f32 v1, v91, v2, -v3
	v_fma_f32 v2, v30, v40, -v10
	v_dual_mul_f32 v7, v82, v7 :: v_dual_sub_f32 v82, v112, v66
	s_delay_alu instid0(VALU_DEP_4) | instskip(SKIP_2) | instid1(VALU_DEP_4)
	v_fma_f32 v4, v79, v4, -v5
	v_mul_f32_e32 v19, v28, v39
	v_mul_f32_e32 v39, v27, v39
	v_fma_f32 v6, v83, v6, -v7
	v_dual_fmac_f32 v15, v29, v40 :: v_dual_add_f32 v40, v22, v17
	v_sub_f32_e32 v83, v14, v69
	s_delay_alu instid0(VALU_DEP_4) | instskip(NEXT) | instid1(VALU_DEP_4)
	v_fma_f32 v5, v28, v38, -v39
	v_dual_sub_f32 v114, v6, v1 :: v_dual_add_nc_u32 v55, 0x400, v59
	v_fmac_f32_e32 v19, v27, v38
	v_sub_f32_e32 v91, v18, v25
	s_delay_alu instid0(VALU_DEP_4)
	v_add_f32_e32 v79, v20, v5
	v_sub_f32_e32 v81, v8, v5
	v_fma_f32 v76, -0.5, v76, v113
	v_dual_add_f32 v75, v113, v20 :: v_dual_add_f32 v82, v82, v83
	v_fma_f32 v40, -0.5, v40, v109
	v_fmac_f32_e32 v113, -0.5, v79
	v_sub_f32_e32 v79, v16, v4
	v_dual_add_f32 v80, v80, v81 :: v_dual_sub_f32 v81, v2, v0
	v_dual_sub_f32 v20, v20, v5 :: v_dual_add_f32 v39, v109, v26
	v_add_f32_e32 v72, v26, v19
	v_add_f32_e32 v87, v18, v6
	;; [unrolled: 1-line block ×4, first 2 shown]
	v_sub_f32_e32 v81, v22, v17
	v_sub_f32_e32 v41, v26, v22
	v_add_f32_e32 v22, v39, v22
	v_sub_f32_e32 v39, v18, v6
	v_add_f32_e32 v18, v86, v18
	;; [unrolled: 2-line block ×3, first 2 shown]
	v_add_f32_e32 v114, v64, v23
	v_dual_add_f32 v3, v60, v110 :: v_dual_sub_f32 v30, v21, v31
	v_sub_f32_e32 v38, v13, v9
	v_sub_f32_e32 v89, v1, v6
	s_delay_alu instid0(VALU_DEP_4)
	v_fma_f32 v114, -0.5, v114, v60
	v_fma_f32 v60, -0.5, v86, v60
	v_sub_f32_e32 v7, v110, v64
	v_dual_sub_f32 v110, v110, v67 :: v_dual_sub_f32 v71, v19, v17
	v_dual_fmac_f32 v109, -0.5, v72 :: v_dual_add_f32 v6, v18, v6
	v_dual_sub_f32 v72, v70, v15 :: v_dual_add_nc_u32 v107, 0x1000, v36
	s_delay_alu instid0(VALU_DEP_3) | instskip(SKIP_4) | instid1(VALU_DEP_4)
	v_dual_add_f32 v30, v30, v38 :: v_dual_add_f32 v41, v41, v71
	v_sub_f32_e32 v71, v68, v65
	v_sub_f32_e32 v28, v31, v21
	;; [unrolled: 1-line block ×3, first 2 shown]
	v_dual_sub_f32 v10, v67, v23 :: v_dual_add_nc_u32 v105, 0x400, v36
	v_dual_add_f32 v71, v71, v72 :: v_dual_add_f32 v72, v21, v13
	s_delay_alu instid0(VALU_DEP_3) | instskip(SKIP_2) | instid1(VALU_DEP_4)
	v_dual_add_f32 v28, v28, v29 :: v_dual_sub_f32 v29, v15, v70
	v_add_f32_e32 v38, v65, v15
	v_dual_add_f32 v90, v25, v1 :: v_dual_lshlrev_b32 v43, 3, v43
	v_fma_f32 v72, -0.5, v72, v61
	v_sub_f32_e32 v27, v23, v67
	v_dual_sub_f32 v74, v17, v19 :: v_dual_add_f32 v17, v22, v17
	v_fma_f32 v87, -0.5, v87, v63
	s_delay_alu instid0(VALU_DEP_3) | instskip(SKIP_4) | instid1(VALU_DEP_4)
	v_dual_sub_f32 v78, v5, v8 :: v_dual_add_f32 v11, v11, v27
	v_sub_f32_e32 v27, v65, v68
	v_sub_f32_e32 v25, v25, v1
	v_dual_add_f32 v73, v73, v74 :: v_dual_add_f32 v74, v24, v16
	v_add_f32_e32 v88, v88, v89
	v_add_f32_e32 v27, v27, v29
	v_sub_f32_e32 v29, v64, v23
	v_sub_f32_e32 v85, v69, v14
	v_add_co_u32 v57, s0, s4, v43
	s_delay_alu instid0(VALU_DEP_1) | instskip(NEXT) | instid1(VALU_DEP_3)
	v_add_co_ci_u32_e64 v58, null, s5, 0, s0
	v_add_f32_e32 v84, v84, v85
	v_add_f32_e32 v115, v111, v65
	v_sub_f32_e32 v65, v65, v15
	v_add_f32_e32 v7, v7, v10
	v_add_f32_e32 v10, v68, v70
	;; [unrolled: 1-line block ×3, first 2 shown]
	v_sub_f32_e32 v85, v4, v16
	v_sub_f32_e32 v16, v16, v2
	v_add_co_u32 v42, s0, 0x31b0, v57
	v_fma_f32 v10, -0.5, v10, v111
	v_dual_fmac_f32 v111, -0.5, v38 :: v_dual_sub_f32 v38, v21, v13
	v_add_nc_u32_e32 v56, 0x4b00, v43
	v_add_co_ci_u32_e64 v43, s0, 0, v58, s0
	v_add_co_u32 v44, s0, 0x4470, v57
	s_delay_alu instid0(VALU_DEP_4) | instskip(SKIP_4) | instid1(VALU_DEP_3)
	v_dual_fmamk_f32 v22, v38, 0x3f737871, v60 :: v_dual_add_f32 v3, v3, v64
	v_sub_f32_e32 v64, v12, v8
	v_add_f32_e32 v12, v75, v12
	v_dual_sub_f32 v75, v31, v9 :: v_dual_fmac_f32 v60, 0xbf737871, v38
	v_add_co_ci_u32_e64 v45, s0, 0, v58, s0
	v_add_f32_e32 v8, v12, v8
	s_delay_alu instid0(VALU_DEP_3) | instskip(SKIP_2) | instid1(VALU_DEP_4)
	v_dual_fmac_f32 v22, 0xbf167918, v75 :: v_dual_fmac_f32 v63, -0.5, v90
	v_add_f32_e32 v90, v61, v31
	v_add_co_u32 v92, s0, 0x1000, v57
	v_add_f32_e32 v5, v8, v5
	v_add_co_ci_u32_e64 v93, s0, 0, v58, s0
	s_delay_alu instid0(VALU_DEP_4) | instskip(SKIP_1) | instid1(VALU_DEP_1)
	v_add_f32_e32 v21, v90, v21
	v_add_co_u32 v94, s0, 0x3000, v57
	v_add_co_ci_u32_e64 v95, s0, 0, v58, s0
	s_delay_alu instid0(VALU_DEP_3) | instskip(SKIP_4) | instid1(VALU_DEP_1)
	v_add_f32_e32 v13, v21, v13
	v_fmamk_f32 v21, v75, 0xbf737871, v114
	v_fmac_f32_e32 v114, 0x3f737871, v75
	v_sub_f32_e32 v90, v66, v69
	v_add_co_u32 v96, s0, 0x1ef0, v57
	v_add_co_ci_u32_e64 v97, s0, 0, v58, s0
	s_delay_alu instid0(VALU_DEP_4) | instskip(SKIP_3) | instid1(VALU_DEP_1)
	v_fmac_f32_e32 v114, 0x3f167918, v38
	v_dual_add_f32 v77, v77, v78 :: v_dual_add_f32 v78, v4, v0
	v_sub_f32_e32 v89, v0, v2
	v_add_co_u32 v98, s0, 0x4000, v57
	v_add_co_ci_u32_e64 v99, s0, 0, v58, s0
	s_delay_alu instid0(VALU_DEP_4) | instskip(SKIP_4) | instid1(VALU_DEP_4)
	v_fma_f32 v78, -0.5, v78, v24
	v_dual_fmac_f32 v24, -0.5, v83 :: v_dual_add_f32 v83, v62, v112
	v_add_f32_e32 v85, v85, v89
	v_add_f32_e32 v89, v66, v69
	v_add_co_u32 v100, s0, 0x5730, v57
	v_add_f32_e32 v66, v83, v66
	v_add_co_ci_u32_e64 v101, s0, 0, v58, s0
	s_delay_alu instid0(VALU_DEP_2) | instskip(SKIP_3) | instid1(VALU_DEP_4)
	v_dual_add_f32 v12, v66, v69 :: v_dual_add_f32 v17, v17, v19
	v_dual_sub_f32 v83, v68, v70 :: v_dual_add_f32 v68, v115, v68
	v_sub_f32_e32 v115, v4, v0
	v_add_f32_e32 v4, v74, v4
	v_add_f32_e32 v8, v12, v14
	;; [unrolled: 1-line block ×7, first 2 shown]
	v_sub_f32_e32 v112, v112, v14
	v_dual_add_f32 v6, v18, v15 :: v_dual_add_f32 v31, v31, v9
	v_fmamk_f32 v9, v16, 0xbf737871, v10
	v_fmac_f32_e32 v10, 0x3f737871, v16
	v_add_f32_e32 v14, v0, v2
	v_fmamk_f32 v70, v26, 0x3f737871, v76
	v_fma_f32 v31, -0.5, v31, v61
	v_fmamk_f32 v68, v20, 0xbf737871, v40
	v_fmac_f32_e32 v10, 0x3f167918, v115
	v_fmamk_f32 v69, v64, 0x3f737871, v109
	v_fmac_f32_e32 v109, 0xbf737871, v64
	v_fmac_f32_e32 v40, 0x3f737871, v20
	;; [unrolled: 1-line block ×4, first 2 shown]
	v_fma_f32 v61, -0.5, v89, v62
	v_fma_f32 v62, -0.5, v74, v62
	v_fmac_f32_e32 v68, 0xbf167918, v64
	v_fmac_f32_e32 v69, 0xbf167918, v20
	;; [unrolled: 1-line block ×4, first 2 shown]
	v_fmamk_f32 v86, v39, 0x3f737871, v62
	v_fmac_f32_e32 v62, 0xbf737871, v39
	v_fmac_f32_e32 v22, 0x3e9e377a, v11
	s_delay_alu instid0(VALU_DEP_3) | instskip(NEXT) | instid1(VALU_DEP_3)
	v_fmac_f32_e32 v86, 0xbf167918, v25
	v_fmac_f32_e32 v62, 0x3f167918, v25
	;; [unrolled: 1-line block ×3, first 2 shown]
	s_delay_alu instid0(VALU_DEP_3)
	v_dual_fmac_f32 v69, 0x3e9e377a, v73 :: v_dual_fmac_f32 v86, 0x3e9e377a, v84
	v_fmamk_f32 v74, v81, 0xbf737871, v113
	v_fmac_f32_e32 v113, 0x3f737871, v81
	v_fmac_f32_e32 v70, 0x3f167918, v81
	;; [unrolled: 1-line block ×11, first 2 shown]
	v_dual_add_f32 v3, v3, v23 :: v_dual_mul_f32 v26, 0x3f4f1bbd, v70
	v_fmac_f32_e32 v76, 0x3e9e377a, v77
	s_delay_alu instid0(VALU_DEP_2) | instskip(NEXT) | instid1(VALU_DEP_3)
	v_dual_mul_f32 v20, 0xbf737871, v113 :: v_dual_add_f32 v3, v3, v67
	v_fmac_f32_e32 v26, 0x3f167918, v68
	s_delay_alu instid0(VALU_DEP_2) | instskip(NEXT) | instid1(VALU_DEP_3)
	v_fmac_f32_e32 v20, 0xbe9e377a, v109
	v_sub_f32_e32 v2, v3, v17
	v_fmamk_f32 v13, v115, 0x3f737871, v111
	v_fmac_f32_e32 v111, 0xbf737871, v115
	s_delay_alu instid0(VALU_DEP_2) | instskip(NEXT) | instid1(VALU_DEP_2)
	v_fmac_f32_e32 v13, 0xbf167918, v16
	v_fmac_f32_e32 v111, 0x3f167918, v16
	v_mul_f32_e32 v16, 0xbf167918, v70
	s_delay_alu instid0(VALU_DEP_1) | instskip(SKIP_2) | instid1(VALU_DEP_1)
	v_fmac_f32_e32 v16, 0x3f4f1bbd, v68
	v_fmamk_f32 v23, v110, 0x3f737871, v72
	v_dual_fmac_f32 v72, 0xbf737871, v110 :: v_dual_add_f32 v1, v4, v5
	v_fmac_f32_e32 v72, 0xbf167918, v29
	s_delay_alu instid0(VALU_DEP_1) | instskip(NEXT) | instid1(VALU_DEP_4)
	v_fmac_f32_e32 v72, 0x3e9e377a, v28
	v_fmac_f32_e32 v23, 0x3f167918, v29
	v_fmamk_f32 v66, v29, 0xbf737871, v31
	s_delay_alu instid0(VALU_DEP_2)
	v_fmac_f32_e32 v23, 0x3e9e377a, v28
	v_mul_f32_e32 v28, 0xbe9e377a, v113
	v_add_f32_e32 v0, v3, v17
	v_sub_f32_e32 v3, v4, v5
	v_add_f32_e32 v4, v8, v6
	v_dual_fmac_f32 v60, 0x3f167918, v75 :: v_dual_add_f32 v5, v12, v14
	v_fmac_f32_e32 v66, 0x3f167918, v110
	v_mul_f32_e32 v17, 0xbf737871, v74
	v_fmac_f32_e32 v28, 0x3f737871, v109
	s_delay_alu instid0(VALU_DEP_4)
	v_fmac_f32_e32 v60, 0x3e9e377a, v11
	v_fmac_f32_e32 v31, 0x3f737871, v29
	v_fmamk_f32 v29, v83, 0xbf737871, v24
	v_fmac_f32_e32 v24, 0x3f737871, v83
	v_dual_fmac_f32 v66, 0x3e9e377a, v30 :: v_dual_fmac_f32 v111, 0x3e9e377a, v71
	v_fmac_f32_e32 v17, 0x3e9e377a, v69
	v_fmamk_f32 v67, v25, 0xbf737871, v61
	s_delay_alu instid0(VALU_DEP_4) | instskip(SKIP_1) | instid1(VALU_DEP_4)
	v_fmac_f32_e32 v24, 0xbf167918, v65
	v_fmac_f32_e32 v61, 0x3f737871, v25
	v_dual_fmac_f32 v13, 0x3e9e377a, v71 :: v_dual_sub_f32 v18, v22, v17
	s_delay_alu instid0(VALU_DEP_4) | instskip(NEXT) | instid1(VALU_DEP_4)
	v_fmac_f32_e32 v67, 0xbf167918, v39
	v_fmac_f32_e32 v24, 0x3e9e377a, v85
	v_dual_fmac_f32 v29, 0x3f167918, v65 :: v_dual_sub_f32 v6, v8, v6
	v_mul_f32_e32 v25, 0xbf167918, v76
	s_delay_alu instid0(VALU_DEP_4) | instskip(NEXT) | instid1(VALU_DEP_4)
	v_fmac_f32_e32 v67, 0x3e9e377a, v82
	v_mul_f32_e32 v41, 0xbf737871, v24
	s_delay_alu instid0(VALU_DEP_4) | instskip(SKIP_2) | instid1(VALU_DEP_4)
	v_fmac_f32_e32 v29, 0x3e9e377a, v85
	v_mul_f32_e32 v71, 0xbe9e377a, v24
	v_fmac_f32_e32 v25, 0xbf4f1bbd, v40
	v_fmac_f32_e32 v41, 0xbe9e377a, v111
	v_fmamk_f32 v19, v65, 0x3f737871, v78
	v_fmac_f32_e32 v78, 0xbf737871, v65
	v_fmac_f32_e32 v114, 0x3e9e377a, v7
	v_mul_f32_e32 v70, 0x3e9e377a, v29
	v_fmamk_f32 v75, v112, 0x3f737871, v87
	v_fmac_f32_e32 v19, 0x3f167918, v83
	v_fmac_f32_e32 v78, 0xbf167918, v83
	;; [unrolled: 1-line block ×8, first 2 shown]
	s_delay_alu instid0(VALU_DEP_4) | instskip(NEXT) | instid1(VALU_DEP_4)
	v_fmac_f32_e32 v75, 0x3e9e377a, v88
	v_mul_f32_e32 v65, 0x3f4f1bbd, v19
	s_delay_alu instid0(VALU_DEP_4) | instskip(SKIP_1) | instid1(VALU_DEP_2)
	v_mul_f32_e32 v64, 0xbf167918, v78
	v_mul_f32_e32 v73, 0xbf4f1bbd, v78
	v_fmac_f32_e32 v64, 0xbf4f1bbd, v10
	s_delay_alu instid0(VALU_DEP_2) | instskip(SKIP_3) | instid1(VALU_DEP_3)
	v_dual_fmac_f32 v73, 0x3f167918, v10 :: v_dual_add_f32 v10, v22, v17
	v_dual_fmac_f32 v21, 0xbf167918, v38 :: v_dual_mul_f32 v38, 0xbf167918, v19
	v_dual_sub_f32 v22, v114, v25 :: v_dual_fmac_f32 v87, 0xbf167918, v90
	v_sub_f32_e32 v17, v23, v26
	v_fmac_f32_e32 v21, 0x3e9e377a, v7
	v_sub_f32_e32 v7, v12, v14
	v_add_f32_e32 v12, v60, v20
	v_dual_sub_f32 v20, v60, v20 :: v_dual_fmac_f32 v61, 0x3f167918, v39
	s_delay_alu instid0(VALU_DEP_4) | instskip(SKIP_2) | instid1(VALU_DEP_4)
	v_dual_mul_f32 v39, 0xbf737871, v29 :: v_dual_add_f32 v8, v21, v16
	v_sub_f32_e32 v16, v21, v16
	v_fmac_f32_e32 v87, 0x3e9e377a, v88
	v_fmac_f32_e32 v61, 0x3e9e377a, v82
	;; [unrolled: 1-line block ×4, first 2 shown]
	v_add_f32_e32 v14, v114, v25
	s_delay_alu instid0(VALU_DEP_3) | instskip(SKIP_1) | instid1(VALU_DEP_2)
	v_dual_sub_f32 v60, v62, v41 :: v_dual_fmac_f32 v31, 0x3e9e377a, v30
	v_mul_f32_e32 v30, 0xbf4f1bbd, v76
	v_add_f32_e32 v13, v31, v28
	v_dual_sub_f32 v21, v31, v28 :: v_dual_add_f32 v28, v62, v41
	v_fmac_f32_e32 v9, 0xbf167918, v115
	s_delay_alu instid0(VALU_DEP_4) | instskip(SKIP_1) | instid1(VALU_DEP_3)
	v_dual_fmac_f32 v30, 0x3f167918, v40 :: v_dual_add_f32 v31, v87, v73
	v_sub_f32_e32 v40, v86, v39
	v_dual_sub_f32 v62, v61, v64 :: v_dual_fmac_f32 v9, 0x3e9e377a, v27
	v_mul_f32_e32 v27, 0x3e9e377a, v74
	s_delay_alu instid0(VALU_DEP_2) | instskip(SKIP_4) | instid1(VALU_DEP_4)
	v_dual_add_f32 v15, v72, v30 :: v_dual_fmac_f32 v38, 0x3f4f1bbd, v9
	v_fmamk_f32 v89, v90, 0xbf737871, v63
	v_fmac_f32_e32 v63, 0x3f737871, v90
	v_fmac_f32_e32 v65, 0x3f167918, v9
	v_dual_add_f32 v9, v23, v26 :: v_dual_add_f32 v26, v86, v39
	v_dual_add_f32 v24, v67, v38 :: v_dual_fmac_f32 v89, 0x3f167918, v112
	s_delay_alu instid0(VALU_DEP_4) | instskip(SKIP_2) | instid1(VALU_DEP_4)
	v_fmac_f32_e32 v63, 0xbf167918, v112
	v_fmac_f32_e32 v27, 0x3f737871, v69
	v_dual_sub_f32 v23, v72, v30 :: v_dual_add_f32 v30, v61, v64
	v_fmac_f32_e32 v89, 0x3e9e377a, v91
	s_delay_alu instid0(VALU_DEP_4) | instskip(NEXT) | instid1(VALU_DEP_4)
	v_fmac_f32_e32 v63, 0x3e9e377a, v91
	v_add_f32_e32 v11, v66, v27
	v_sub_f32_e32 v19, v66, v27
	v_add_f32_e32 v25, v75, v65
	v_add_f32_e32 v27, v89, v70
	;; [unrolled: 1-line block ×3, first 2 shown]
	v_sub_f32_e32 v38, v67, v38
	v_sub_f32_e32 v39, v75, v65
	;; [unrolled: 1-line block ×5, first 2 shown]
	ds_store_2addr_b64 v59, v[0:1], v[8:9] offset1:100
	ds_store_2addr_b64 v55, v[10:11], v[12:13] offset0:72 offset1:172
	ds_store_2addr_b64 v102, v[14:15], v[2:3] offset0:144 offset1:244
	;; [unrolled: 1-line block ×4, first 2 shown]
	ds_store_2addr_b64 v36, v[4:5], v[24:25] offset1:100
	ds_store_2addr_b64 v105, v[26:27], v[28:29] offset0:72 offset1:172
	ds_store_2addr_b64 v106, v[30:31], v[6:7] offset0:144 offset1:244
	;; [unrolled: 1-line block ×4, first 2 shown]
	v_add_co_u32 v12, s0, 0x5000, v57
	s_delay_alu instid0(VALU_DEP_1) | instskip(SKIP_1) | instid1(VALU_DEP_1)
	v_add_co_ci_u32_e64 v13, s0, 0, v58, s0
	v_add_co_u32 v18, s0, s4, v56
	v_add_co_ci_u32_e64 v19, null, s5, 0, s0
	s_waitcnt lgkmcnt(0)
	s_delay_alu instid0(VALU_DEP_2) | instskip(NEXT) | instid1(VALU_DEP_1)
	v_add_co_u32 v16, s0, 0x1000, v18
	v_add_co_ci_u32_e64 v17, s0, 0, v19, s0
	v_add_co_u32 v20, s0, 0x1ef0, v18
	s_delay_alu instid0(VALU_DEP_1)
	v_add_co_ci_u32_e64 v21, s0, 0, v19, s0
	s_barrier
	buffer_gl0_inv
	s_clause 0x9
	global_load_b64 v[75:76], v[42:43], off offset:16
	global_load_b64 v[77:78], v[44:45], off offset:16
	global_load_b128 v[0:3], v[92:93], off offset:3824
	global_load_b128 v[4:7], v[94:95], off offset:432
	global_load_b64 v[79:80], v[96:97], off offset:16
	global_load_b128 v[8:11], v[98:99], off offset:1136
	global_load_b128 v[12:15], v[12:13], off offset:1840
	global_load_b64 v[81:82], v[100:101], off offset:16
	global_load_b128 v[16:19], v[16:17], off offset:3824
	global_load_b64 v[83:84], v[20:21], off offset:16
	ds_load_2addr_b64 v[20:23], v54 offset1:200
	ds_load_2addr_b64 v[24:27], v33 offset0:32 offset1:232
	ds_load_2addr_b64 v[28:31], v52 offset0:16 offset1:216
	;; [unrolled: 1-line block ×4, first 2 shown]
	ds_load_2addr_b64 v[55:58], v46 offset1:200
	ds_load_2addr_b64 v[59:62], v48 offset0:16 offset1:216
	ds_load_2addr_b64 v[63:66], v49 offset0:32 offset1:232
	ds_load_2addr_b64 v[67:70], v47 offset1:200
	ds_load_2addr_b64 v[71:74], v53 offset0:16 offset1:216
	s_waitcnt vmcnt(0) lgkmcnt(0)
	s_barrier
	buffer_gl0_inv
	v_mul_f32_e32 v36, v21, v76
	v_dual_mul_f32 v76, v20, v76 :: v_dual_mul_f32 v85, v23, v78
	v_mul_f32_e32 v78, v22, v78
	v_mul_f32_e32 v86, v1, v27
	;; [unrolled: 1-line block ×16, first 2 shown]
	v_dual_mul_f32 v13, v67, v13 :: v_dual_mul_f32 v94, v66, v15
	v_mul_f32_e32 v15, v65, v15
	v_mul_f32_e32 v95, v72, v82
	;; [unrolled: 1-line block ×9, first 2 shown]
	v_fmac_f32_e32 v36, v20, v75
	v_fma_f32 v20, v21, v75, -v76
	v_fmac_f32_e32 v85, v22, v77
	v_fma_f32 v21, v23, v77, -v78
	;; [unrolled: 2-line block ×15, first 2 shown]
	v_dual_sub_f32 v13, v55, v87 :: v_dual_sub_f32 v14, v56, v1
	v_dual_sub_f32 v1, v86, v89 :: v_dual_sub_f32 v6, v0, v6
	;; [unrolled: 1-line block ×3, first 2 shown]
	v_sub_f32_e32 v2, v3, v20
	v_sub_f32_e32 v15, v90, v36
	;; [unrolled: 1-line block ×6, first 2 shown]
	v_dual_sub_f32 v26, v61, v94 :: v_dual_sub_f32 v27, v62, v8
	v_dual_sub_f32 v8, v93, v95 :: v_dual_sub_f32 v9, v7, v9
	;; [unrolled: 1-line block ×4, first 2 shown]
	v_fma_f32 v30, v55, 2.0, -v13
	v_fma_f32 v31, v56, 2.0, -v14
	;; [unrolled: 1-line block ×4, first 2 shown]
	v_dual_add_f32 v0, v13, v6 :: v_dual_sub_f32 v1, v14, v1
	v_fma_f32 v36, v57, 2.0, -v16
	v_fma_f32 v38, v58, 2.0, -v17
	;; [unrolled: 1-line block ×8, first 2 shown]
	v_sub_f32_e32 v5, v22, v5
	v_fma_f32 v44, v61, 2.0, -v26
	v_fma_f32 v45, v62, 2.0, -v27
	;; [unrolled: 1-line block ×4, first 2 shown]
	v_dual_add_f32 v6, v26, v9 :: v_dual_sub_f32 v7, v27, v8
	v_fma_f32 v57, v24, 2.0, -v28
	v_fma_f32 v58, v25, 2.0, -v29
	;; [unrolled: 1-line block ×4, first 2 shown]
	v_dual_add_f32 v2, v16, v2 :: v_dual_sub_f32 v3, v17, v15
	v_add_f32_e32 v4, v20, v18
	v_dual_add_f32 v8, v28, v12 :: v_dual_sub_f32 v9, v29, v11
	v_dual_sub_f32 v10, v30, v19 :: v_dual_sub_f32 v11, v31, v21
	v_fma_f32 v12, v13, 2.0, -v0
	v_fma_f32 v13, v14, 2.0, -v1
	v_sub_f32_e32 v14, v36, v23
	v_dual_sub_f32 v15, v38, v39 :: v_dual_sub_f32 v18, v40, v42
	v_sub_f32_e32 v19, v41, v43
	v_fma_f32 v21, v22, 2.0, -v5
	v_dual_sub_f32 v22, v44, v55 :: v_dual_sub_f32 v23, v45, v56
	v_fma_f32 v24, v26, 2.0, -v6
	v_fma_f32 v25, v27, 2.0, -v7
	v_dual_sub_f32 v26, v57, v59 :: v_dual_sub_f32 v27, v58, v60
	v_fma_f32 v16, v16, 2.0, -v2
	v_fma_f32 v17, v17, 2.0, -v3
	;; [unrolled: 1-line block ×5, first 2 shown]
	ds_store_2addr_b64 v54, v[2:3], v[4:5] offset1:200
	ds_store_2addr_b64 v53, v[6:7], v[8:9] offset0:16 offset1:216
	v_fma_f32 v2, v30, 2.0, -v10
	v_fma_f32 v3, v31, 2.0, -v11
	;; [unrolled: 1-line block ×10, first 2 shown]
	ds_store_2addr_b64 v52, v[10:11], v[14:15] offset0:16 offset1:216
	ds_store_2addr_b64 v51, v[16:17], v[20:21] offset0:48 offset1:248
	;; [unrolled: 1-line block ×3, first 2 shown]
	ds_store_2addr_b64 v47, v[24:25], v[28:29] offset1:200
	ds_store_2addr_b64 v50, v[26:27], v[0:1] offset0:48 offset1:248
	ds_store_2addr_b64 v46, v[2:3], v[4:5] offset1:200
	ds_store_2addr_b64 v48, v[6:7], v[8:9] offset0:16 offset1:216
	ds_store_2addr_b64 v33, v[30:31], v[12:13] offset0:32 offset1:232
	s_waitcnt lgkmcnt(0)
	s_barrier
	buffer_gl0_inv
	s_and_saveexec_b32 s0, vcc_lo
	s_cbranch_execz .LBB0_19
; %bb.18:
	v_dual_mov_b32 v33, v37 :: v_dual_add_nc_u32 v36, 0xc8, v32
	v_lshl_add_u32 v26, v32, 3, 0
	s_delay_alu instid0(VALU_DEP_2) | instskip(SKIP_2) | instid1(VALU_DEP_4)
	v_lshlrev_b64 v[4:5], 3, v[32:33]
	v_add_co_u32 v33, vcc_lo, s8, v34
	v_add_co_ci_u32_e32 v34, vcc_lo, s9, v35, vcc_lo
	v_add_nc_u32_e32 v6, 0xc00, v26
	ds_load_2addr_b64 v[0:3], v26 offset1:200
	v_lshlrev_b64 v[8:9], 3, v[36:37]
	v_add_nc_u32_e32 v36, 0x190, v32
	v_add_co_u32 v10, vcc_lo, v33, v4
	v_add_co_ci_u32_e32 v11, vcc_lo, v34, v5, vcc_lo
	ds_load_2addr_b64 v[4:7], v6 offset0:16 offset1:216
	v_lshlrev_b64 v[12:13], 3, v[36:37]
	v_add_nc_u32_e32 v36, 0x258, v32
	v_add_co_u32 v8, vcc_lo, v33, v8
	v_add_co_ci_u32_e32 v9, vcc_lo, v34, v9, vcc_lo
	s_delay_alu instid0(VALU_DEP_3) | instskip(SKIP_3) | instid1(VALU_DEP_4)
	v_lshlrev_b64 v[14:15], 3, v[36:37]
	v_add_co_u32 v12, vcc_lo, v33, v12
	v_add_nc_u32_e32 v36, 0x320, v32
	v_add_co_ci_u32_e32 v13, vcc_lo, v34, v13, vcc_lo
	v_add_co_u32 v14, vcc_lo, v33, v14
	v_add_co_ci_u32_e32 v15, vcc_lo, v34, v15, vcc_lo
	v_add_nc_u32_e32 v18, 0x1800, v26
	v_lshlrev_b64 v[16:17], 3, v[36:37]
	v_add_nc_u32_e32 v36, 0x3e8, v32
	s_waitcnt lgkmcnt(1)
	s_clause 0x1
	global_store_b64 v[10:11], v[0:1], off
	global_store_b64 v[8:9], v[2:3], off
	s_waitcnt lgkmcnt(0)
	s_clause 0x1
	global_store_b64 v[12:13], v[4:5], off
	global_store_b64 v[14:15], v[6:7], off
	v_add_nc_u32_e32 v4, 0x2400, v26
	ds_load_2addr_b64 v[0:3], v18 offset0:32 offset1:232
	v_add_nc_u32_e32 v18, 0x3200, v26
	v_lshlrev_b64 v[8:9], 3, v[36:37]
	v_add_nc_u32_e32 v36, 0x4b0, v32
	ds_load_2addr_b64 v[4:7], v4 offset0:48 offset1:248
	v_add_co_u32 v10, vcc_lo, v33, v16
	v_add_co_ci_u32_e32 v11, vcc_lo, v34, v17, vcc_lo
	v_lshlrev_b64 v[12:13], 3, v[36:37]
	v_add_nc_u32_e32 v36, 0x578, v32
	v_add_co_u32 v8, vcc_lo, v33, v8
	v_add_co_ci_u32_e32 v9, vcc_lo, v34, v9, vcc_lo
	s_delay_alu instid0(VALU_DEP_3) | instskip(SKIP_3) | instid1(VALU_DEP_4)
	v_lshlrev_b64 v[14:15], 3, v[36:37]
	v_add_co_u32 v12, vcc_lo, v33, v12
	v_add_nc_u32_e32 v36, 0x640, v32
	v_add_co_ci_u32_e32 v13, vcc_lo, v34, v13, vcc_lo
	v_add_co_u32 v14, vcc_lo, v33, v14
	v_add_co_ci_u32_e32 v15, vcc_lo, v34, v15, vcc_lo
	s_delay_alu instid0(VALU_DEP_4)
	v_lshlrev_b64 v[16:17], 3, v[36:37]
	v_add_nc_u32_e32 v36, 0x708, v32
	s_waitcnt lgkmcnt(1)
	s_clause 0x1
	global_store_b64 v[10:11], v[0:1], off
	global_store_b64 v[8:9], v[2:3], off
	s_waitcnt lgkmcnt(0)
	s_clause 0x1
	global_store_b64 v[12:13], v[4:5], off
	global_store_b64 v[14:15], v[6:7], off
	v_add_nc_u32_e32 v4, 0x3e00, v26
	ds_load_2addr_b64 v[0:3], v18 offset1:200
	v_add_nc_u32_e32 v18, 0x4a00, v26
	v_lshlrev_b64 v[8:9], 3, v[36:37]
	v_add_nc_u32_e32 v36, 0x7d0, v32
	ds_load_2addr_b64 v[4:7], v4 offset0:16 offset1:216
	v_add_co_u32 v10, vcc_lo, v33, v16
	v_add_co_ci_u32_e32 v11, vcc_lo, v34, v17, vcc_lo
	v_lshlrev_b64 v[12:13], 3, v[36:37]
	v_add_nc_u32_e32 v36, 0x898, v32
	v_add_co_u32 v8, vcc_lo, v33, v8
	v_add_co_ci_u32_e32 v9, vcc_lo, v34, v9, vcc_lo
	s_delay_alu instid0(VALU_DEP_3) | instskip(SKIP_3) | instid1(VALU_DEP_3)
	v_lshlrev_b64 v[14:15], 3, v[36:37]
	v_add_nc_u32_e32 v36, 0x960, v32
	v_add_co_u32 v12, vcc_lo, v33, v12
	v_add_co_ci_u32_e32 v13, vcc_lo, v34, v13, vcc_lo
	v_lshlrev_b64 v[16:17], 3, v[36:37]
	v_add_nc_u32_e32 v36, 0xa28, v32
	v_add_co_u32 v14, vcc_lo, v33, v14
	v_add_co_ci_u32_e32 v15, vcc_lo, v34, v15, vcc_lo
	s_waitcnt lgkmcnt(1)
	s_clause 0x1
	global_store_b64 v[10:11], v[0:1], off
	global_store_b64 v[8:9], v[2:3], off
	s_waitcnt lgkmcnt(0)
	s_clause 0x1
	global_store_b64 v[12:13], v[4:5], off
	global_store_b64 v[14:15], v[6:7], off
	v_lshlrev_b64 v[4:5], 3, v[36:37]
	v_add_nc_u32_e32 v36, 0xaf0, v32
	v_add_co_u32 v16, vcc_lo, v33, v16
	v_add_co_ci_u32_e32 v17, vcc_lo, v34, v17, vcc_lo
	s_delay_alu instid0(VALU_DEP_3)
	v_lshlrev_b64 v[8:9], 3, v[36:37]
	v_add_nc_u32_e32 v36, 0xbb8, v32
	ds_load_2addr_b64 v[0:3], v18 offset0:32 offset1:232
	v_add_co_u32 v18, vcc_lo, v33, v4
	v_add_nc_u32_e32 v6, 0x5600, v26
	v_lshlrev_b64 v[10:11], 3, v[36:37]
	v_add_nc_u32_e32 v36, 0xc80, v32
	v_add_co_ci_u32_e32 v19, vcc_lo, v34, v5, vcc_lo
	v_add_co_u32 v20, vcc_lo, v33, v8
	s_delay_alu instid0(VALU_DEP_3)
	v_lshlrev_b64 v[12:13], 3, v[36:37]
	v_add_nc_u32_e32 v36, 0xd48, v32
	v_add_nc_u32_e32 v8, 0x6400, v26
	v_add_co_ci_u32_e32 v21, vcc_lo, v34, v9, vcc_lo
	v_add_co_u32 v22, vcc_lo, v33, v10
	v_add_nc_u32_e32 v14, 0x7000, v26
	ds_load_2addr_b64 v[4:7], v6 offset0:48 offset1:248
	v_lshlrev_b64 v[24:25], 3, v[36:37]
	v_add_nc_u32_e32 v36, 0xe10, v32
	v_add_co_ci_u32_e32 v23, vcc_lo, v34, v11, vcc_lo
	ds_load_2addr_b64 v[8:11], v8 offset1:200
	v_add_co_u32 v26, vcc_lo, v33, v12
	v_add_co_ci_u32_e32 v27, vcc_lo, v34, v13, vcc_lo
	ds_load_2addr_b64 v[12:15], v14 offset0:16 offset1:216
	v_lshlrev_b64 v[28:29], 3, v[36:37]
	v_add_nc_u32_e32 v36, 0xed8, v32
	v_add_co_u32 v24, vcc_lo, v33, v24
	v_add_co_ci_u32_e32 v25, vcc_lo, v34, v25, vcc_lo
	s_delay_alu instid0(VALU_DEP_3) | instskip(SKIP_2) | instid1(VALU_DEP_3)
	v_lshlrev_b64 v[30:31], 3, v[36:37]
	v_add_co_u32 v28, vcc_lo, v33, v28
	v_add_co_ci_u32_e32 v29, vcc_lo, v34, v29, vcc_lo
	v_add_co_u32 v30, vcc_lo, v33, v30
	s_delay_alu instid0(VALU_DEP_4)
	v_add_co_ci_u32_e32 v31, vcc_lo, v34, v31, vcc_lo
	s_waitcnt lgkmcnt(3)
	s_clause 0x1
	global_store_b64 v[16:17], v[0:1], off
	global_store_b64 v[18:19], v[2:3], off
	s_waitcnt lgkmcnt(2)
	s_clause 0x1
	global_store_b64 v[20:21], v[4:5], off
	global_store_b64 v[22:23], v[6:7], off
	s_waitcnt lgkmcnt(1)
	s_clause 0x1
	global_store_b64 v[26:27], v[8:9], off
	global_store_b64 v[24:25], v[10:11], off
	s_waitcnt lgkmcnt(0)
	s_clause 0x1
	global_store_b64 v[28:29], v[12:13], off
	global_store_b64 v[30:31], v[14:15], off
.LBB0_19:
	s_nop 0
	s_sendmsg sendmsg(MSG_DEALLOC_VGPRS)
	s_endpgm
	.section	.rodata,"a",@progbits
	.p2align	6, 0x0
	.amdhsa_kernel fft_rtc_back_len4000_factors_10_10_10_4_wgs_200_tpt_200_halfLds_sp_ip_CI_unitstride_sbrr_C2R_dirReg
		.amdhsa_group_segment_fixed_size 0
		.amdhsa_private_segment_fixed_size 0
		.amdhsa_kernarg_size 88
		.amdhsa_user_sgpr_count 15
		.amdhsa_user_sgpr_dispatch_ptr 0
		.amdhsa_user_sgpr_queue_ptr 0
		.amdhsa_user_sgpr_kernarg_segment_ptr 1
		.amdhsa_user_sgpr_dispatch_id 0
		.amdhsa_user_sgpr_private_segment_size 0
		.amdhsa_wavefront_size32 1
		.amdhsa_uses_dynamic_stack 0
		.amdhsa_enable_private_segment 0
		.amdhsa_system_sgpr_workgroup_id_x 1
		.amdhsa_system_sgpr_workgroup_id_y 0
		.amdhsa_system_sgpr_workgroup_id_z 0
		.amdhsa_system_sgpr_workgroup_info 0
		.amdhsa_system_vgpr_workitem_id 0
		.amdhsa_next_free_vgpr 117
		.amdhsa_next_free_sgpr 21
		.amdhsa_reserve_vcc 1
		.amdhsa_float_round_mode_32 0
		.amdhsa_float_round_mode_16_64 0
		.amdhsa_float_denorm_mode_32 3
		.amdhsa_float_denorm_mode_16_64 3
		.amdhsa_dx10_clamp 1
		.amdhsa_ieee_mode 1
		.amdhsa_fp16_overflow 0
		.amdhsa_workgroup_processor_mode 1
		.amdhsa_memory_ordered 1
		.amdhsa_forward_progress 0
		.amdhsa_shared_vgpr_count 0
		.amdhsa_exception_fp_ieee_invalid_op 0
		.amdhsa_exception_fp_denorm_src 0
		.amdhsa_exception_fp_ieee_div_zero 0
		.amdhsa_exception_fp_ieee_overflow 0
		.amdhsa_exception_fp_ieee_underflow 0
		.amdhsa_exception_fp_ieee_inexact 0
		.amdhsa_exception_int_div_zero 0
	.end_amdhsa_kernel
	.text
.Lfunc_end0:
	.size	fft_rtc_back_len4000_factors_10_10_10_4_wgs_200_tpt_200_halfLds_sp_ip_CI_unitstride_sbrr_C2R_dirReg, .Lfunc_end0-fft_rtc_back_len4000_factors_10_10_10_4_wgs_200_tpt_200_halfLds_sp_ip_CI_unitstride_sbrr_C2R_dirReg
                                        ; -- End function
	.section	.AMDGPU.csdata,"",@progbits
; Kernel info:
; codeLenInByte = 13452
; NumSgprs: 23
; NumVgprs: 117
; ScratchSize: 0
; MemoryBound: 0
; FloatMode: 240
; IeeeMode: 1
; LDSByteSize: 0 bytes/workgroup (compile time only)
; SGPRBlocks: 2
; VGPRBlocks: 14
; NumSGPRsForWavesPerEU: 23
; NumVGPRsForWavesPerEU: 117
; Occupancy: 12
; WaveLimiterHint : 1
; COMPUTE_PGM_RSRC2:SCRATCH_EN: 0
; COMPUTE_PGM_RSRC2:USER_SGPR: 15
; COMPUTE_PGM_RSRC2:TRAP_HANDLER: 0
; COMPUTE_PGM_RSRC2:TGID_X_EN: 1
; COMPUTE_PGM_RSRC2:TGID_Y_EN: 0
; COMPUTE_PGM_RSRC2:TGID_Z_EN: 0
; COMPUTE_PGM_RSRC2:TIDIG_COMP_CNT: 0
	.text
	.p2alignl 7, 3214868480
	.fill 96, 4, 3214868480
	.type	__hip_cuid_dd7733f84c81a4b7,@object ; @__hip_cuid_dd7733f84c81a4b7
	.section	.bss,"aw",@nobits
	.globl	__hip_cuid_dd7733f84c81a4b7
__hip_cuid_dd7733f84c81a4b7:
	.byte	0                               ; 0x0
	.size	__hip_cuid_dd7733f84c81a4b7, 1

	.ident	"AMD clang version 19.0.0git (https://github.com/RadeonOpenCompute/llvm-project roc-6.4.0 25133 c7fe45cf4b819c5991fe208aaa96edf142730f1d)"
	.section	".note.GNU-stack","",@progbits
	.addrsig
	.addrsig_sym __hip_cuid_dd7733f84c81a4b7
	.amdgpu_metadata
---
amdhsa.kernels:
  - .args:
      - .actual_access:  read_only
        .address_space:  global
        .offset:         0
        .size:           8
        .value_kind:     global_buffer
      - .offset:         8
        .size:           8
        .value_kind:     by_value
      - .actual_access:  read_only
        .address_space:  global
        .offset:         16
        .size:           8
        .value_kind:     global_buffer
      - .actual_access:  read_only
        .address_space:  global
        .offset:         24
        .size:           8
        .value_kind:     global_buffer
      - .offset:         32
        .size:           8
        .value_kind:     by_value
      - .actual_access:  read_only
        .address_space:  global
        .offset:         40
        .size:           8
        .value_kind:     global_buffer
      - .actual_access:  read_only
        .address_space:  global
        .offset:         48
        .size:           8
        .value_kind:     global_buffer
      - .offset:         56
        .size:           4
        .value_kind:     by_value
      - .actual_access:  read_only
        .address_space:  global
        .offset:         64
        .size:           8
        .value_kind:     global_buffer
      - .actual_access:  read_only
        .address_space:  global
        .offset:         72
        .size:           8
        .value_kind:     global_buffer
      - .address_space:  global
        .offset:         80
        .size:           8
        .value_kind:     global_buffer
    .group_segment_fixed_size: 0
    .kernarg_segment_align: 8
    .kernarg_segment_size: 88
    .language:       OpenCL C
    .language_version:
      - 2
      - 0
    .max_flat_workgroup_size: 200
    .name:           fft_rtc_back_len4000_factors_10_10_10_4_wgs_200_tpt_200_halfLds_sp_ip_CI_unitstride_sbrr_C2R_dirReg
    .private_segment_fixed_size: 0
    .sgpr_count:     23
    .sgpr_spill_count: 0
    .symbol:         fft_rtc_back_len4000_factors_10_10_10_4_wgs_200_tpt_200_halfLds_sp_ip_CI_unitstride_sbrr_C2R_dirReg.kd
    .uniform_work_group_size: 1
    .uses_dynamic_stack: false
    .vgpr_count:     117
    .vgpr_spill_count: 0
    .wavefront_size: 32
    .workgroup_processor_mode: 1
amdhsa.target:   amdgcn-amd-amdhsa--gfx1100
amdhsa.version:
  - 1
  - 2
...

	.end_amdgpu_metadata
